;; amdgpu-corpus repo=ROCm/rocFFT kind=compiled arch=gfx906 opt=O3
	.text
	.amdgcn_target "amdgcn-amd-amdhsa--gfx906"
	.amdhsa_code_object_version 6
	.protected	bluestein_single_back_len756_dim1_half_op_CI_CI ; -- Begin function bluestein_single_back_len756_dim1_half_op_CI_CI
	.globl	bluestein_single_back_len756_dim1_half_op_CI_CI
	.p2align	8
	.type	bluestein_single_back_len756_dim1_half_op_CI_CI,@function
bluestein_single_back_len756_dim1_half_op_CI_CI: ; @bluestein_single_back_len756_dim1_half_op_CI_CI
; %bb.0:
	s_load_dwordx4 s[8:11], s[4:5], 0x28
	v_mul_u32_u24_e32 v1, 0x411, v0
	v_add_u32_sdwa v8, s6, v1 dst_sel:DWORD dst_unused:UNUSED_PAD src0_sel:DWORD src1_sel:WORD_1
	v_mov_b32_e32 v9, 0
	s_waitcnt lgkmcnt(0)
	v_cmp_gt_u64_e32 vcc, s[8:9], v[8:9]
	s_and_saveexec_b64 s[0:1], vcc
	s_cbranch_execz .LBB0_10
; %bb.1:
	s_load_dwordx4 s[0:3], s[4:5], 0x18
	s_load_dwordx4 s[12:15], s[4:5], 0x0
	v_mov_b32_e32 v2, 63
	v_mul_lo_u16_sdwa v1, v1, v2 dst_sel:DWORD dst_unused:UNUSED_PAD src0_sel:WORD_1 src1_sel:DWORD
	v_sub_u16_e32 v57, v0, v1
	s_waitcnt lgkmcnt(0)
	s_load_dwordx4 s[16:19], s[0:1], 0x0
	v_lshlrev_b32_e32 v47, 2, v57
	global_load_dword v58, v47, s[12:13]
	v_add_u32_e32 v63, 0x200, v47
	v_add_u32_e32 v64, 0x600, v47
	s_waitcnt lgkmcnt(0)
	v_mad_u64_u32 v[0:1], s[0:1], s18, v8, 0
	v_mad_u64_u32 v[2:3], s[0:1], s16, v57, 0
	s_mul_hi_u32 s7, s16, 0xfffffb14
	s_mul_i32 s6, s17, 0xfffffb14
	v_mad_u64_u32 v[4:5], s[0:1], s19, v8, v[1:2]
	s_sub_i32 s7, s7, s16
	s_add_i32 s6, s7, s6
	v_mad_u64_u32 v[5:6], s[0:1], s17, v57, v[3:4]
	v_mov_b32_e32 v1, v4
	v_lshlrev_b64 v[0:1], 2, v[0:1]
	v_mov_b32_e32 v6, s11
	v_mov_b32_e32 v3, v5
	v_add_co_u32_e32 v4, vcc, s10, v0
	v_addc_co_u32_e32 v5, vcc, v6, v1, vcc
	v_lshlrev_b64 v[0:1], 2, v[2:3]
	s_mul_i32 s0, s17, 0x5e8
	v_add_co_u32_e32 v0, vcc, v4, v0
	s_mul_hi_u32 s1, s16, 0x5e8
	v_addc_co_u32_e32 v1, vcc, v5, v1, vcc
	s_add_i32 s0, s1, s0
	s_mul_i32 s1, s16, 0x5e8
	v_mov_b32_e32 v3, s0
	v_add_co_u32_e32 v2, vcc, s1, v0
	v_addc_co_u32_e32 v3, vcc, v1, v3, vcc
	global_load_dword v4, v[0:1], off
	global_load_dword v5, v[2:3], off
	global_load_dword v56, v47, s[12:13] offset:1512
	s_mul_i32 s7, s16, 0xfffffb14
	v_mov_b32_e32 v1, s6
	v_add_co_u32_e32 v0, vcc, s7, v2
	v_addc_co_u32_e32 v1, vcc, v3, v1, vcc
	global_load_dword v2, v[0:1], off
	global_load_dword v55, v47, s[12:13] offset:252
	v_mov_b32_e32 v3, s0
	v_add_co_u32_e32 v0, vcc, s1, v0
	v_addc_co_u32_e32 v1, vcc, v1, v3, vcc
	global_load_dword v3, v[0:1], off
	global_load_dword v54, v47, s[12:13] offset:1764
	;; [unrolled: 5-line block ×10, first 2 shown]
	s_load_dwordx4 s[8:11], s[2:3], 0x0
	s_movk_i32 s0, 0x7e
	v_add_co_u32_e32 v77, vcc, 63, v57
	v_lshlrev_b32_e32 v59, 3, v57
	v_lshlrev_b32_e32 v61, 3, v77
	s_mov_b32 s1, 0xbaee
	s_movk_i32 s2, 0xab
	s_waitcnt vmcnt(22)
	v_lshrrev_b32_e32 v0, 16, v4
	v_mul_f16_sdwa v1, v58, v0 dst_sel:DWORD dst_unused:UNUSED_PAD src0_sel:WORD_1 src1_sel:DWORD
	v_fma_f16 v1, v58, v4, v1
	v_mul_f16_sdwa v4, v58, v4 dst_sel:DWORD dst_unused:UNUSED_PAD src0_sel:WORD_1 src1_sel:DWORD
	v_fma_f16 v0, v58, v0, -v4
	v_pack_b32_f16 v0, v1, v0
	s_waitcnt vmcnt(21)
	v_lshrrev_b32_e32 v1, 16, v5
	s_waitcnt vmcnt(20)
	v_mul_f16_sdwa v4, v56, v1 dst_sel:DWORD dst_unused:UNUSED_PAD src0_sel:WORD_1 src1_sel:DWORD
	v_fma_f16 v4, v56, v5, v4
	v_mul_f16_sdwa v5, v56, v5 dst_sel:DWORD dst_unused:UNUSED_PAD src0_sel:WORD_1 src1_sel:DWORD
	v_fma_f16 v1, v56, v1, -v5
	v_pack_b32_f16 v1, v4, v1
	ds_write_b32 v47, v1 offset:1512
	s_waitcnt vmcnt(19)
	v_lshrrev_b32_e32 v1, 16, v2
	s_waitcnt vmcnt(18)
	v_mul_f16_sdwa v4, v55, v1 dst_sel:DWORD dst_unused:UNUSED_PAD src0_sel:WORD_1 src1_sel:DWORD
	v_fma_f16 v4, v55, v2, v4
	v_mul_f16_sdwa v2, v55, v2 dst_sel:DWORD dst_unused:UNUSED_PAD src0_sel:WORD_1 src1_sel:DWORD
	v_fma_f16 v1, v55, v1, -v2
	v_pack_b32_f16 v1, v4, v1
	ds_write2_b32 v47, v0, v1 offset1:63
	s_waitcnt vmcnt(17)
	v_lshrrev_b32_e32 v0, 16, v3
	s_waitcnt vmcnt(16)
	v_mul_f16_sdwa v1, v54, v0 dst_sel:DWORD dst_unused:UNUSED_PAD src0_sel:WORD_1 src1_sel:DWORD
	v_mul_f16_sdwa v2, v54, v3 dst_sel:DWORD dst_unused:UNUSED_PAD src0_sel:WORD_1 src1_sel:DWORD
	v_fma_f16 v1, v54, v3, v1
	v_fma_f16 v0, v54, v0, -v2
	v_pack_b32_f16 v0, v1, v0
	s_waitcnt vmcnt(15)
	v_lshrrev_b32_e32 v1, 16, v6
	s_waitcnt vmcnt(14)
	v_mul_f16_sdwa v2, v53, v1 dst_sel:DWORD dst_unused:UNUSED_PAD src0_sel:WORD_1 src1_sel:DWORD
	v_mul_f16_sdwa v3, v53, v6 dst_sel:DWORD dst_unused:UNUSED_PAD src0_sel:WORD_1 src1_sel:DWORD
	v_fma_f16 v2, v53, v6, v2
	v_fma_f16 v1, v53, v1, -v3
	v_pack_b32_f16 v1, v2, v1
	;; [unrolled: 8-line block ×3, first 2 shown]
	v_add_u32_e32 v4, 0x400, v47
	ds_write2_b32 v4, v0, v2 offset0:185 offset1:248
	s_waitcnt vmcnt(11)
	v_lshrrev_b32_e32 v0, 16, v9
	s_waitcnt vmcnt(10)
	v_mul_f16_sdwa v2, v51, v0 dst_sel:DWORD dst_unused:UNUSED_PAD src0_sel:WORD_1 src1_sel:DWORD
	v_mul_f16_sdwa v3, v51, v9 dst_sel:DWORD dst_unused:UNUSED_PAD src0_sel:WORD_1 src1_sel:DWORD
	v_fma_f16 v2, v51, v9, v2
	v_fma_f16 v0, v51, v0, -v3
	v_pack_b32_f16 v0, v2, v0
	ds_write2_b32 v47, v1, v0 offset0:126 offset1:189
	s_waitcnt vmcnt(9)
	v_lshrrev_b32_e32 v0, 16, v10
	s_waitcnt vmcnt(8)
	v_mul_f16_sdwa v1, v50, v0 dst_sel:DWORD dst_unused:UNUSED_PAD src0_sel:WORD_1 src1_sel:DWORD
	v_mul_f16_sdwa v2, v50, v10 dst_sel:DWORD dst_unused:UNUSED_PAD src0_sel:WORD_1 src1_sel:DWORD
	v_fma_f16 v1, v50, v10, v1
	v_fma_f16 v0, v50, v0, -v2
	v_pack_b32_f16 v1, v1, v0
	s_waitcnt vmcnt(7)
	v_lshrrev_b32_e32 v0, 16, v11
	s_waitcnt vmcnt(6)
	v_mul_f16_sdwa v2, v49, v0 dst_sel:DWORD dst_unused:UNUSED_PAD src0_sel:WORD_1 src1_sel:DWORD
	v_mul_f16_sdwa v3, v49, v11 dst_sel:DWORD dst_unused:UNUSED_PAD src0_sel:WORD_1 src1_sel:DWORD
	v_fma_f16 v2, v49, v11, v2
	v_fma_f16 v0, v49, v0, -v3
	v_pack_b32_f16 v2, v2, v0
	;; [unrolled: 8-line block ×3, first 2 shown]
	v_add_u32_e32 v0, 0x800, v47
	ds_write2_b32 v0, v1, v3 offset0:55 offset1:118
	s_waitcnt vmcnt(3)
	v_lshrrev_b32_e32 v1, 16, v13
	s_waitcnt vmcnt(2)
	v_mul_f16_sdwa v3, v46, v1 dst_sel:DWORD dst_unused:UNUSED_PAD src0_sel:WORD_1 src1_sel:DWORD
	v_mul_f16_sdwa v5, v46, v13 dst_sel:DWORD dst_unused:UNUSED_PAD src0_sel:WORD_1 src1_sel:DWORD
	v_fma_f16 v3, v46, v13, v3
	v_fma_f16 v1, v46, v1, -v5
	v_pack_b32_f16 v1, v3, v1
	ds_write2_b32 v63, v2, v1 offset0:124 offset1:187
	s_waitcnt vmcnt(1)
	v_lshrrev_b32_e32 v1, 16, v14
	s_waitcnt vmcnt(0)
	v_mul_f16_sdwa v2, v45, v1 dst_sel:DWORD dst_unused:UNUSED_PAD src0_sel:WORD_1 src1_sel:DWORD
	v_mul_f16_sdwa v3, v45, v14 dst_sel:DWORD dst_unused:UNUSED_PAD src0_sel:WORD_1 src1_sel:DWORD
	v_fma_f16 v2, v45, v14, v2
	v_fma_f16 v1, v45, v1, -v3
	v_pack_b32_f16 v1, v2, v1
	ds_write_b32 v47, v1 offset:2772
	s_waitcnt lgkmcnt(0)
	; wave barrier
	s_waitcnt lgkmcnt(0)
	ds_read2_b32 v[5:6], v47 offset1:63
	ds_read2_b32 v[9:10], v4 offset0:122 offset1:185
	ds_read2_b32 v[13:14], v47 offset0:126 offset1:189
	;; [unrolled: 1-line block ×3, first 2 shown]
	v_add_co_u32_e32 v2, vcc, s0, v57
	s_waitcnt lgkmcnt(2)
	v_pk_add_f16 v12, v5, v9 neg_lo:[0,1] neg_hi:[0,1]
	v_pk_add_f16 v7, v6, v10 neg_lo:[0,1] neg_hi:[0,1]
	ds_read2_b32 v[9:10], v63 offset0:124 offset1:187
	ds_read2_b32 v[17:18], v0 offset0:118 offset1:181
	s_movk_i32 s0, 0xbd
	v_pk_fma_f16 v11, v5, 2.0, v12 op_sel_hi:[1,0,1] neg_lo:[0,0,1] neg_hi:[0,0,1]
	v_pk_fma_f16 v6, v6, 2.0, v7 op_sel_hi:[1,0,1] neg_lo:[0,0,1] neg_hi:[0,0,1]
	s_waitcnt lgkmcnt(2)
	v_pk_add_f16 v20, v13, v15 neg_lo:[0,1] neg_hi:[0,1]
	v_pk_add_f16 v15, v14, v16 neg_lo:[0,1] neg_hi:[0,1]
	v_add_co_u32_e32 v1, vcc, s0, v57
	v_lshlrev_b32_e32 v3, 1, v57
	v_pk_fma_f16 v19, v13, 2.0, v20 op_sel_hi:[1,0,1] neg_lo:[0,0,1] neg_hi:[0,0,1]
	v_pk_fma_f16 v14, v14, 2.0, v15 op_sel_hi:[1,0,1] neg_lo:[0,0,1] neg_hi:[0,0,1]
	s_waitcnt lgkmcnt(0)
	v_pk_add_f16 v17, v9, v17 neg_lo:[0,1] neg_hi:[0,1]
	v_pk_add_f16 v22, v10, v18 neg_lo:[0,1] neg_hi:[0,1]
	s_waitcnt lgkmcnt(0)
	; wave barrier
	ds_write_b64 v59, v[11:12]
	ds_write_b64 v61, v[6:7]
	v_lshlrev_b32_e32 v62, 3, v2
	v_lshlrev_b32_e32 v60, 3, v1
	v_lshlrev_b32_e32 v5, 2, v3
	v_and_b32_e32 v7, 1, v57
	v_pk_fma_f16 v16, v9, 2.0, v17 op_sel_hi:[1,0,1] neg_lo:[0,0,1] neg_hi:[0,0,1]
	v_pk_fma_f16 v21, v10, 2.0, v22 op_sel_hi:[1,0,1] neg_lo:[0,0,1] neg_hi:[0,0,1]
	ds_write_b64 v62, v[19:20]
	ds_write_b64 v60, v[14:15]
	ds_write_b64 v5, v[16:17] offset:2016
	ds_write_b64 v59, v[21:22] offset:2520
	v_lshlrev_b32_e32 v5, 2, v7
	s_waitcnt lgkmcnt(0)
	; wave barrier
	s_waitcnt lgkmcnt(0)
	global_load_dword v65, v5, s[14:15]
	v_add_u32_e32 v5, 0x13b, v57
	v_and_b32_e32 v21, 1, v5
	v_and_b32_e32 v6, 1, v77
	v_lshlrev_b32_e32 v10, 2, v21
	v_lshlrev_b32_e32 v9, 2, v6
	global_load_ushort v67, v10, s[14:15] offset:2
	global_load_dword v68, v10, s[14:15]
	global_load_ushort v73, v9, s[14:15]
	v_and_b32_e32 v22, 1, v1
	v_lshlrev_b32_e32 v9, 2, v22
	global_load_ushort v71, v9, s[14:15] offset:2
	global_load_ushort v70, v9, s[14:15]
	ds_read2_b32 v[9:10], v4 offset0:122 offset1:185
	ds_read2_b32 v[11:12], v47 offset1:63
	s_movk_i32 s0, 0x7c
	v_and_or_b32 v23, v3, s0, v7
	v_lshlrev_b32_e32 v69, 2, v23
	s_waitcnt lgkmcnt(1)
	v_lshrrev_b32_e32 v13, 16, v9
	s_movk_i32 s0, 0xfc
	v_lshlrev_b32_e32 v23, 1, v77
	v_and_or_b32 v6, v23, s0, v6
	v_lshlrev_b32_e32 v72, 2, v6
	s_movk_i32 s0, 0x1fc
	v_and_b32_e32 v30, 3, v1
	v_and_b32_e32 v29, 3, v2
	s_waitcnt vmcnt(5)
	v_mul_f16_sdwa v14, v9, v65 dst_sel:DWORD dst_unused:UNUSED_PAD src0_sel:DWORD src1_sel:WORD_1
	v_fma_f16 v14, v13, v65, v14
	v_mul_f16_sdwa v13, v13, v65 dst_sel:DWORD dst_unused:UNUSED_PAD src0_sel:DWORD src1_sel:WORD_1
	v_fma_f16 v9, v9, v65, -v13
	s_waitcnt lgkmcnt(0)
	v_lshrrev_b32_e32 v13, 16, v11
	v_sub_f16_e32 v9, v11, v9
	v_sub_f16_e32 v14, v13, v14
	v_fma_f16 v13, v13, 2.0, -v14
	v_fma_f16 v11, v11, 2.0, -v9
	v_pack_b32_f16 v11, v11, v13
	v_pack_b32_f16 v9, v9, v14
	ds_read2_b32 v[13:14], v47 offset0:126 offset1:189
	ds_read2_b32 v[15:16], v64 offset0:120 offset1:183
	;; [unrolled: 1-line block ×4, first 2 shown]
	s_waitcnt lgkmcnt(0)
	; wave barrier
	s_waitcnt lgkmcnt(0)
	ds_write2_b32 v69, v11, v9 offset1:2
	v_lshrrev_b32_e32 v9, 16, v10
	s_waitcnt vmcnt(3)
	v_mul_f16_sdwa v11, v9, v68 dst_sel:DWORD dst_unused:UNUSED_PAD src0_sel:DWORD src1_sel:WORD_1
	s_waitcnt vmcnt(2)
	v_fma_f16 v11, v10, v73, -v11
	v_mul_f16_sdwa v10, v10, v68 dst_sel:DWORD dst_unused:UNUSED_PAD src0_sel:DWORD src1_sel:WORD_1
	v_fma_f16 v9, v9, v73, v10
	v_sub_f16_e32 v10, v12, v11
	v_lshrrev_b32_e32 v11, 16, v12
	v_sub_f16_e32 v9, v11, v9
	v_fma_f16 v12, v12, 2.0, -v10
	v_fma_f16 v11, v11, 2.0, -v9
	v_pack_b32_f16 v11, v12, v11
	v_pack_b32_f16 v9, v10, v9
	ds_write2_b32 v72, v11, v9 offset1:2
	v_lshrrev_b32_e32 v6, 16, v15
	v_mul_f16_sdwa v9, v15, v65 dst_sel:DWORD dst_unused:UNUSED_PAD src0_sel:DWORD src1_sel:WORD_1
	v_fma_f16 v9, v6, v65, v9
	v_mul_f16_sdwa v6, v6, v65 dst_sel:DWORD dst_unused:UNUSED_PAD src0_sel:DWORD src1_sel:WORD_1
	v_fma_f16 v6, v15, v65, -v6
	v_lshrrev_b32_e32 v10, 16, v13
	v_sub_f16_e32 v6, v13, v6
	v_sub_f16_e32 v9, v10, v9
	v_fma_f16 v10, v10, 2.0, -v9
	v_fma_f16 v11, v13, 2.0, -v6
	v_pack_b32_f16 v6, v6, v9
	v_lshlrev_b32_e32 v9, 1, v2
	v_and_or_b32 v9, v9, s0, v7
	v_pack_b32_f16 v10, v11, v10
	v_lshlrev_b32_e32 v75, 2, v9
	ds_write2_b32 v75, v10, v6 offset1:2
	v_lshrrev_b32_e32 v6, 16, v16
	s_waitcnt vmcnt(1)
	v_mul_f16_e32 v9, v6, v71
	v_mul_f16_e32 v10, v16, v71
	s_waitcnt vmcnt(0)
	v_fma_f16 v9, v16, v70, -v9
	v_fma_f16 v6, v6, v70, v10
	v_lshrrev_b32_e32 v10, 16, v14
	v_sub_f16_e32 v9, v14, v9
	v_lshlrev_b32_e32 v12, 1, v1
	v_sub_f16_e32 v6, v10, v6
	v_fma_f16 v11, v14, 2.0, -v9
	v_and_or_b32 v12, v12, s0, v22
	v_fma_f16 v10, v10, 2.0, -v6
	v_pack_b32_f16 v10, v11, v10
	v_pack_b32_f16 v6, v9, v6
	v_lshlrev_b32_e32 v76, 2, v12
	ds_write2_b32 v76, v10, v6 offset1:2
	v_lshrrev_b32_e32 v6, 16, v19
	v_mul_f16_sdwa v9, v19, v65 dst_sel:DWORD dst_unused:UNUSED_PAD src0_sel:DWORD src1_sel:WORD_1
	v_fma_f16 v9, v6, v65, v9
	v_mul_f16_sdwa v6, v6, v65 dst_sel:DWORD dst_unused:UNUSED_PAD src0_sel:DWORD src1_sel:WORD_1
	v_fma_f16 v6, v19, v65, -v6
	v_lshrrev_b32_e32 v10, 16, v17
	v_sub_f16_e32 v6, v17, v6
	v_sub_f16_e32 v9, v10, v9
	v_fma_f16 v10, v10, 2.0, -v9
	v_fma_f16 v11, v17, 2.0, -v6
	v_pack_b32_f16 v9, v6, v9
	v_add_u32_e32 v6, 0x1f8, v3
	s_movk_i32 s0, 0x3fc
	v_and_or_b32 v3, v6, s0, v7
	v_pack_b32_f16 v10, v11, v10
	v_lshlrev_b32_e32 v79, 2, v3
	v_lshrrev_b32_e32 v3, 16, v20
	ds_write2_b32 v79, v10, v9 offset1:2
	v_mul_f16_e32 v7, v3, v67
	v_mul_f16_e32 v9, v20, v67
	v_fma_f16 v7, v20, v68, -v7
	v_fma_f16 v3, v3, v68, v9
	v_lshrrev_b32_e32 v9, 16, v18
	v_sub_f16_e32 v7, v18, v7
	s_movk_i32 s0, 0x2fc
	v_lshlrev_b32_e32 v11, 1, v5
	v_sub_f16_e32 v3, v9, v3
	v_fma_f16 v10, v18, 2.0, -v7
	v_and_or_b32 v11, v11, s0, v21
	v_fma_f16 v9, v9, 2.0, -v3
	v_pack_b32_f16 v9, v10, v9
	v_pack_b32_f16 v3, v7, v3
	v_lshlrev_b32_e32 v80, 2, v11
	ds_write2_b32 v80, v9, v3 offset1:2
	v_and_b32_e32 v3, 3, v57
	v_lshlrev_b32_e32 v7, 3, v3
	s_waitcnt lgkmcnt(0)
	; wave barrier
	s_waitcnt lgkmcnt(0)
	global_load_dwordx2 v[15:16], v7, s[14:15] offset:8
	v_lshlrev_b32_e32 v11, 3, v30
	global_load_dwordx2 v[11:12], v11, s[14:15] offset:8
	v_and_b32_e32 v7, 3, v77
	v_lshlrev_b32_e32 v9, 3, v7
	global_load_dwordx2 v[13:14], v9, s[14:15] offset:8
	v_lshlrev_b32_e32 v9, 3, v29
	global_load_dwordx2 v[9:10], v9, s[14:15] offset:8
	ds_read2_b32 v[17:18], v63 offset0:124 offset1:187
	ds_read2_b32 v[19:20], v64 offset0:120 offset1:183
	ds_read2_b32 v[21:22], v47 offset1:63
	s_movk_i32 s0, 0x3aee
	s_waitcnt lgkmcnt(2)
	v_lshrrev_b32_e32 v23, 16, v17
	s_waitcnt lgkmcnt(1)
	v_lshrrev_b32_e32 v25, 16, v19
	;; [unrolled: 2-line block ×3, first 2 shown]
	s_waitcnt vmcnt(3)
	v_mul_f16_sdwa v24, v17, v15 dst_sel:DWORD dst_unused:UNUSED_PAD src0_sel:DWORD src1_sel:WORD_1
	v_fma_f16 v24, v23, v15, v24
	v_mul_f16_sdwa v26, v19, v16 dst_sel:DWORD dst_unused:UNUSED_PAD src0_sel:DWORD src1_sel:WORD_1
	v_mul_f16_sdwa v23, v23, v15 dst_sel:DWORD dst_unused:UNUSED_PAD src0_sel:DWORD src1_sel:WORD_1
	v_fma_f16 v26, v25, v16, v26
	v_fma_f16 v17, v17, v15, -v23
	v_mul_f16_sdwa v23, v25, v16 dst_sel:DWORD dst_unused:UNUSED_PAD src0_sel:DWORD src1_sel:WORD_1
	v_add_f16_e32 v28, v27, v24
	v_sub_f16_e32 v31, v24, v26
	v_add_f16_e32 v24, v24, v26
	v_fma_f16 v19, v19, v16, -v23
	v_add_f16_e32 v23, v21, v17
	v_fma_f16 v32, v24, -0.5, v27
	v_add_f16_e32 v23, v23, v19
	v_add_f16_e32 v24, v17, v19
	v_sub_f16_e32 v17, v17, v19
	v_lshrrev_b32_e32 v19, 2, v57
	v_add_f16_e32 v28, v28, v26
	v_mul_u32_u24_e32 v19, 12, v19
	v_fma_f16 v21, v24, -0.5, v21
	v_or_b32_e32 v3, v19, v3
	v_pack_b32_f16 v19, v23, v28
	v_fma_f16 v23, v31, s0, v21
	v_fma_f16 v24, v17, s1, v32
	v_pack_b32_f16 v33, v23, v24
	v_lshlrev_b32_e32 v66, 2, v3
	v_lshrrev_b32_e32 v3, 16, v18
	ds_read2_b32 v[23:24], v47 offset0:126 offset1:189
	ds_read2_b32 v[25:26], v4 offset0:122 offset1:185
	;; [unrolled: 1-line block ×3, first 2 shown]
	s_waitcnt lgkmcnt(0)
	; wave barrier
	s_waitcnt lgkmcnt(0)
	ds_write2_b32 v66, v19, v33 offset1:4
	s_waitcnt vmcnt(1)
	v_mul_f16_sdwa v19, v3, v13 dst_sel:DWORD dst_unused:UNUSED_PAD src0_sel:DWORD src1_sel:WORD_1
	v_fma_f16 v19, v18, v13, -v19
	v_mul_f16_sdwa v18, v18, v13 dst_sel:DWORD dst_unused:UNUSED_PAD src0_sel:DWORD src1_sel:WORD_1
	v_fma_f16 v3, v3, v13, v18
	v_lshrrev_b32_e32 v18, 16, v20
	v_mul_f16_sdwa v33, v18, v14 dst_sel:DWORD dst_unused:UNUSED_PAD src0_sel:DWORD src1_sel:WORD_1
	v_fma_f16 v33, v20, v14, -v33
	v_mul_f16_sdwa v20, v20, v14 dst_sel:DWORD dst_unused:UNUSED_PAD src0_sel:DWORD src1_sel:WORD_1
	v_fma_f16 v18, v18, v14, v20
	v_fma_f16 v20, v31, s1, v21
	;; [unrolled: 1-line block ×3, first 2 shown]
	v_add_f16_e32 v21, v19, v33
	v_lshrrev_b32_e32 v31, 16, v22
	v_pack_b32_f16 v17, v20, v17
	v_fma_f16 v21, v21, -0.5, v22
	v_add_f16_e32 v22, v22, v19
	v_add_f16_e32 v32, v31, v3
	v_sub_f16_e32 v34, v3, v18
	v_add_f16_e32 v3, v3, v18
	ds_write_b32 v66, v17 offset:32
	v_lshrrev_b32_e32 v17, 2, v77
	v_add_f16_e32 v32, v32, v18
	v_fma_f16 v3, v3, -0.5, v31
	v_add_f16_e32 v18, v22, v33
	v_sub_f16_e32 v19, v19, v33
	v_mul_u32_u24_e32 v17, 12, v17
	v_or_b32_e32 v7, v17, v7
	v_pack_b32_f16 v17, v18, v32
	v_fma_f16 v18, v34, s0, v21
	v_fma_f16 v20, v19, s1, v3
	v_pack_b32_f16 v18, v18, v20
	v_lshlrev_b32_e32 v74, 2, v7
	ds_write2_b32 v74, v17, v18 offset1:4
	v_fma_f16 v3, v19, s0, v3
	v_lshrrev_b32_e32 v17, 16, v25
	s_waitcnt vmcnt(0)
	v_mul_f16_sdwa v18, v25, v9 dst_sel:DWORD dst_unused:UNUSED_PAD src0_sel:DWORD src1_sel:WORD_1
	v_lshrrev_b32_e32 v19, 16, v27
	v_mul_f16_sdwa v20, v27, v10 dst_sel:DWORD dst_unused:UNUSED_PAD src0_sel:DWORD src1_sel:WORD_1
	v_fma_f16 v7, v34, s1, v21
	v_fma_f16 v18, v17, v9, v18
	;; [unrolled: 1-line block ×3, first 2 shown]
	v_lshrrev_b32_e32 v21, 16, v23
	v_mul_f16_sdwa v17, v17, v9 dst_sel:DWORD dst_unused:UNUSED_PAD src0_sel:DWORD src1_sel:WORD_1
	v_mul_f16_sdwa v19, v19, v10 dst_sel:DWORD dst_unused:UNUSED_PAD src0_sel:DWORD src1_sel:WORD_1
	v_add_f16_e32 v22, v21, v18
	v_sub_f16_e32 v31, v18, v20
	v_add_f16_e32 v18, v18, v20
	v_fma_f16 v17, v25, v9, -v17
	v_fma_f16 v19, v27, v10, -v19
	v_pack_b32_f16 v3, v7, v3
	v_add_f16_e32 v22, v22, v20
	v_fma_f16 v18, v18, -0.5, v21
	v_add_f16_e32 v20, v23, v17
	v_add_f16_e32 v21, v17, v19
	ds_write_b32 v74, v3 offset:32
	v_lshrrev_b32_e32 v3, 2, v2
	v_add_f16_e32 v20, v20, v19
	v_sub_f16_e32 v17, v17, v19
	v_mul_u32_u24_e32 v3, 12, v3
	v_fma_f16 v19, v21, -0.5, v23
	v_or_b32_e32 v3, v3, v29
	v_pack_b32_f16 v7, v20, v22
	v_fma_f16 v20, v31, s0, v19
	v_fma_f16 v21, v17, s1, v18
	v_pack_b32_f16 v20, v20, v21
	v_lshlrev_b32_e32 v78, 2, v3
	ds_write2_b32 v78, v7, v20 offset1:4
	v_lshrrev_b32_e32 v3, 16, v26
	v_mul_f16_sdwa v20, v26, v11 dst_sel:DWORD dst_unused:UNUSED_PAD src0_sel:DWORD src1_sel:WORD_1
	v_mul_f16_sdwa v7, v3, v11 dst_sel:DWORD dst_unused:UNUSED_PAD src0_sel:DWORD src1_sel:WORD_1
	v_fma_f16 v3, v3, v11, v20
	v_lshrrev_b32_e32 v20, 16, v28
	v_mul_f16_sdwa v21, v20, v12 dst_sel:DWORD dst_unused:UNUSED_PAD src0_sel:DWORD src1_sel:WORD_1
	v_fma_f16 v19, v31, s1, v19
	v_fma_f16 v17, v17, s0, v18
	v_fma_f16 v7, v26, v11, -v7
	v_fma_f16 v21, v28, v12, -v21
	v_mul_f16_sdwa v22, v28, v12 dst_sel:DWORD dst_unused:UNUSED_PAD src0_sel:DWORD src1_sel:WORD_1
	v_pack_b32_f16 v17, v19, v17
	v_fma_f16 v20, v20, v12, v22
	v_add_f16_e32 v18, v7, v21
	v_lshrrev_b32_e32 v22, 16, v24
	ds_write_b32 v78, v17 offset:32
	v_lshrrev_b32_e32 v17, 2, v1
	v_fma_f16 v18, v18, -0.5, v24
	v_add_f16_e32 v23, v24, v7
	v_add_f16_e32 v24, v22, v3
	v_sub_f16_e32 v25, v3, v20
	v_add_f16_e32 v3, v3, v20
	v_mul_u32_u24_e32 v17, 12, v17
	v_fma_f16 v3, v3, -0.5, v22
	v_sub_f16_e32 v7, v7, v21
	v_or_b32_e32 v17, v17, v30
	v_add_f16_e32 v24, v24, v20
	v_add_f16_e32 v20, v23, v21
	v_fma_f16 v21, v7, s1, v3
	v_lshlrev_b32_e32 v81, 2, v17
	v_fma_f16 v17, v25, s1, v18
	v_fma_f16 v3, v7, s0, v3
	v_pack_b32_f16 v3, v17, v3
	ds_write_b32 v81, v3 offset:32
	v_mul_lo_u16_sdwa v3, v57, s2 dst_sel:DWORD dst_unused:UNUSED_PAD src0_sel:BYTE_0 src1_sel:DWORD
	v_lshrrev_b16_e32 v3, 11, v3
	v_mul_lo_u16_e32 v7, 12, v3
	v_sub_u16_e32 v7, v57, v7
	v_pack_b32_f16 v19, v20, v24
	v_fma_f16 v20, v25, s0, v18
	v_and_b32_e32 v7, 0xff, v7
	v_pack_b32_f16 v20, v20, v21
	v_lshlrev_b32_e32 v17, 3, v7
	ds_write2_b32 v81, v19, v20 offset1:4
	s_waitcnt lgkmcnt(0)
	; wave barrier
	s_waitcnt lgkmcnt(0)
	global_load_dwordx2 v[17:18], v17, s[14:15] offset:40
	v_mul_lo_u16_sdwa v19, v77, s2 dst_sel:DWORD dst_unused:UNUSED_PAD src0_sel:BYTE_0 src1_sel:DWORD
	v_lshrrev_b16_e32 v37, 11, v19
	v_mul_lo_u16_e32 v19, 12, v37
	v_sub_u16_e32 v19, v77, v19
	v_and_b32_e32 v38, 0xff, v19
	v_lshlrev_b32_e32 v19, 3, v38
	global_load_dwordx2 v[19:20], v19, s[14:15] offset:40
	v_mul_lo_u16_sdwa v21, v2, s2 dst_sel:DWORD dst_unused:UNUSED_PAD src0_sel:BYTE_0 src1_sel:DWORD
	v_lshrrev_b16_e32 v39, 11, v21
	v_mul_lo_u16_e32 v21, 12, v39
	v_sub_u16_e32 v21, v2, v21
	v_and_b32_e32 v40, 0xff, v21
	v_lshlrev_b32_e32 v21, 3, v40
	;; [unrolled: 7-line block ×3, first 2 shown]
	global_load_dwordx2 v[23:24], v23, s[14:15] offset:40
	ds_read2_b32 v[25:26], v63 offset0:124 offset1:187
	ds_read2_b32 v[27:28], v64 offset0:120 offset1:183
	ds_read2_b32 v[29:30], v47 offset1:63
	v_mul_lo_u16_e32 v3, 36, v3
	v_and_b32_e32 v3, 0xfc, v3
	s_waitcnt lgkmcnt(2)
	v_lshrrev_b32_e32 v31, 16, v25
	s_waitcnt lgkmcnt(1)
	v_lshrrev_b32_e32 v33, 16, v27
	;; [unrolled: 2-line block ×3, first 2 shown]
	v_add_lshl_u32 v82, v3, v7, 2
	s_movk_i32 s2, 0xffdc
	s_waitcnt vmcnt(3)
	v_mul_f16_sdwa v32, v25, v17 dst_sel:DWORD dst_unused:UNUSED_PAD src0_sel:DWORD src1_sel:WORD_1
	v_fma_f16 v32, v31, v17, v32
	v_mul_f16_sdwa v34, v27, v18 dst_sel:DWORD dst_unused:UNUSED_PAD src0_sel:DWORD src1_sel:WORD_1
	v_mul_f16_sdwa v31, v31, v17 dst_sel:DWORD dst_unused:UNUSED_PAD src0_sel:DWORD src1_sel:WORD_1
	v_fma_f16 v34, v33, v18, v34
	v_fma_f16 v25, v25, v17, -v31
	v_mul_f16_sdwa v31, v33, v18 dst_sel:DWORD dst_unused:UNUSED_PAD src0_sel:DWORD src1_sel:WORD_1
	v_add_f16_e32 v36, v35, v32
	v_sub_f16_e32 v43, v32, v34
	v_add_f16_e32 v32, v32, v34
	v_fma_f16 v27, v27, v18, -v31
	v_fma_f16 v44, v32, -0.5, v35
	v_add_f16_e32 v32, v25, v27
	v_add_f16_e32 v31, v29, v25
	v_sub_f16_e32 v25, v25, v27
	v_fma_f16 v7, v32, -0.5, v29
	v_add_f16_e32 v36, v36, v34
	v_add_f16_e32 v31, v31, v27
	v_fma_f16 v27, v43, s0, v7
	v_fma_f16 v29, v25, s1, v44
	v_pack_b32_f16 v3, v31, v36
	v_pack_b32_f16 v27, v27, v29
	ds_read2_b32 v[31:32], v47 offset0:126 offset1:189
	ds_read2_b32 v[33:34], v4 offset0:122 offset1:185
	;; [unrolled: 1-line block ×3, first 2 shown]
	s_waitcnt lgkmcnt(0)
	; wave barrier
	s_waitcnt lgkmcnt(0)
	ds_write2_b32 v82, v3, v27 offset1:12
	v_lshrrev_b32_e32 v3, 16, v26
	s_waitcnt vmcnt(2)
	v_mul_f16_sdwa v27, v3, v19 dst_sel:DWORD dst_unused:UNUSED_PAD src0_sel:DWORD src1_sel:WORD_1
	v_fma_f16 v27, v26, v19, -v27
	v_mul_f16_sdwa v26, v26, v19 dst_sel:DWORD dst_unused:UNUSED_PAD src0_sel:DWORD src1_sel:WORD_1
	v_fma_f16 v3, v3, v19, v26
	v_lshrrev_b32_e32 v26, 16, v28
	v_mul_f16_sdwa v29, v26, v20 dst_sel:DWORD dst_unused:UNUSED_PAD src0_sel:DWORD src1_sel:WORD_1
	v_fma_f16 v29, v28, v20, -v29
	v_mul_f16_sdwa v28, v28, v20 dst_sel:DWORD dst_unused:UNUSED_PAD src0_sel:DWORD src1_sel:WORD_1
	v_fma_f16 v26, v26, v20, v28
	v_fma_f16 v7, v43, s1, v7
	;; [unrolled: 1-line block ×3, first 2 shown]
	v_add_f16_e32 v28, v27, v29
	v_lshrrev_b32_e32 v43, 16, v30
	v_fma_f16 v28, v28, -0.5, v30
	v_add_f16_e32 v30, v30, v27
	v_add_f16_e32 v44, v43, v3
	v_sub_f16_e32 v84, v3, v26
	v_add_f16_e32 v3, v3, v26
	v_pack_b32_f16 v7, v7, v25
	v_add_f16_e32 v44, v44, v26
	v_fma_f16 v3, v3, -0.5, v43
	v_add_f16_e32 v26, v30, v29
	v_sub_f16_e32 v27, v27, v29
	ds_write_b32 v82, v7 offset:96
	v_mul_u32_u24_e32 v7, 36, v37
	v_add_lshl_u32 v83, v7, v38, 2
	v_pack_b32_f16 v7, v26, v44
	v_fma_f16 v25, v84, s0, v28
	v_fma_f16 v26, v27, s1, v3
	v_pack_b32_f16 v25, v25, v26
	ds_write2_b32 v83, v7, v25 offset1:12
	v_fma_f16 v7, v84, s1, v28
	v_fma_f16 v3, v27, s0, v3
	v_lshrrev_b32_e32 v25, 16, v33
	s_waitcnt vmcnt(1)
	v_mul_f16_sdwa v26, v33, v21 dst_sel:DWORD dst_unused:UNUSED_PAD src0_sel:DWORD src1_sel:WORD_1
	v_lshrrev_b32_e32 v27, 16, v35
	v_mul_f16_sdwa v28, v35, v22 dst_sel:DWORD dst_unused:UNUSED_PAD src0_sel:DWORD src1_sel:WORD_1
	v_fma_f16 v26, v25, v21, v26
	v_fma_f16 v28, v27, v22, v28
	v_lshrrev_b32_e32 v29, 16, v31
	v_mul_f16_sdwa v25, v25, v21 dst_sel:DWORD dst_unused:UNUSED_PAD src0_sel:DWORD src1_sel:WORD_1
	v_mul_f16_sdwa v27, v27, v22 dst_sel:DWORD dst_unused:UNUSED_PAD src0_sel:DWORD src1_sel:WORD_1
	v_add_f16_e32 v30, v29, v26
	v_sub_f16_e32 v37, v26, v28
	v_add_f16_e32 v26, v26, v28
	v_fma_f16 v25, v33, v21, -v25
	v_fma_f16 v27, v35, v22, -v27
	v_add_f16_e32 v30, v30, v28
	v_fma_f16 v26, v26, -0.5, v29
	v_add_f16_e32 v28, v31, v25
	v_add_f16_e32 v29, v25, v27
	v_pack_b32_f16 v3, v7, v3
	v_add_f16_e32 v28, v28, v27
	v_sub_f16_e32 v25, v25, v27
	ds_write_b32 v83, v3 offset:96
	v_mul_u32_u24_e32 v3, 36, v39
	v_fma_f16 v7, v29, -0.5, v31
	v_add_lshl_u32 v84, v3, v40, 2
	v_pack_b32_f16 v3, v28, v30
	v_fma_f16 v27, v37, s0, v7
	v_fma_f16 v28, v25, s1, v26
	v_pack_b32_f16 v27, v27, v28
	ds_write2_b32 v84, v3, v27 offset1:12
	v_lshrrev_b32_e32 v3, 16, v34
	s_waitcnt vmcnt(0)
	v_mul_f16_sdwa v28, v34, v23 dst_sel:DWORD dst_unused:UNUSED_PAD src0_sel:DWORD src1_sel:WORD_1
	v_mul_f16_sdwa v27, v3, v23 dst_sel:DWORD dst_unused:UNUSED_PAD src0_sel:DWORD src1_sel:WORD_1
	v_fma_f16 v3, v3, v23, v28
	v_lshrrev_b32_e32 v28, 16, v36
	v_mul_f16_sdwa v29, v28, v24 dst_sel:DWORD dst_unused:UNUSED_PAD src0_sel:DWORD src1_sel:WORD_1
	v_fma_f16 v27, v34, v23, -v27
	v_fma_f16 v29, v36, v24, -v29
	v_mul_f16_sdwa v30, v36, v24 dst_sel:DWORD dst_unused:UNUSED_PAD src0_sel:DWORD src1_sel:WORD_1
	v_fma_f16 v28, v28, v24, v30
	v_fma_f16 v7, v37, s1, v7
	;; [unrolled: 1-line block ×3, first 2 shown]
	v_add_f16_e32 v26, v27, v29
	v_lshrrev_b32_e32 v30, 16, v32
	v_fma_f16 v26, v26, -0.5, v32
	v_add_f16_e32 v31, v32, v27
	v_add_f16_e32 v32, v30, v3
	v_sub_f16_e32 v33, v3, v28
	v_add_f16_e32 v3, v3, v28
	v_pack_b32_f16 v7, v7, v25
	v_add_f16_e32 v32, v32, v28
	v_fma_f16 v3, v3, -0.5, v30
	v_add_f16_e32 v28, v31, v29
	v_sub_f16_e32 v27, v27, v29
	ds_write_b32 v84, v7 offset:96
	v_mul_u32_u24_e32 v7, 36, v41
	v_add_lshl_u32 v85, v7, v42, 2
	v_pack_b32_f16 v7, v28, v32
	v_fma_f16 v25, v33, s0, v26
	v_fma_f16 v28, v27, s1, v3
	v_pack_b32_f16 v25, v25, v28
	ds_write2_b32 v85, v7, v25 offset1:12
	v_fma_f16 v7, v33, s1, v26
	v_fma_f16 v3, v27, s0, v3
	v_pack_b32_f16 v3, v7, v3
	v_mov_b32_e32 v7, 57
	ds_write_b32 v85, v3 offset:96
	v_mul_lo_u16_sdwa v3, v2, v7 dst_sel:DWORD dst_unused:UNUSED_PAD src0_sel:BYTE_0 src1_sel:DWORD
	v_lshrrev_b16_e32 v43, 11, v3
	v_mul_lo_u16_e32 v3, 36, v43
	v_sub_u16_e32 v2, v2, v3
	v_and_b32_e32 v44, 0xff, v2
	v_lshlrev_b32_e32 v2, 3, v44
	s_waitcnt lgkmcnt(0)
	; wave barrier
	s_waitcnt lgkmcnt(0)
	global_load_dwordx2 v[25:26], v2, s[14:15] offset:136
	v_add_co_u32_e32 v2, vcc, s2, v57
	v_addc_co_u32_e64 v3, s[2:3], 0, -1, vcc
	v_cmp_gt_u16_e32 vcc, 36, v57
	v_cndmask_b32_e64 v3, v3, 0, vcc
	v_cndmask_b32_e32 v2, v2, v57, vcc
	v_lshlrev_b64 v[27:28], 3, v[2:3]
	v_mov_b32_e32 v3, s15
	v_add_co_u32_e32 v27, vcc, s14, v27
	v_addc_co_u32_e32 v28, vcc, v3, v28, vcc
	global_load_dwordx2 v[27:28], v[27:28], off offset:136
	v_mul_lo_u16_sdwa v3, v1, v7 dst_sel:DWORD dst_unused:UNUSED_PAD src0_sel:BYTE_0 src1_sel:DWORD
	v_lshrrev_b16_e32 v89, 11, v3
	v_mul_lo_u16_e32 v3, 36, v89
	v_sub_u16_e32 v1, v1, v3
	v_and_b32_e32 v90, 0xff, v1
	v_mul_lo_u16_sdwa v1, v77, v7 dst_sel:DWORD dst_unused:UNUSED_PAD src0_sel:BYTE_0 src1_sel:DWORD
	v_lshrrev_b16_e32 v7, 11, v1
	v_mul_lo_u16_e32 v1, 36, v7
	v_sub_u16_e32 v1, v77, v1
	v_and_b32_e32 v87, 0xff, v1
	v_lshlrev_b32_e32 v3, 3, v90
	v_lshlrev_b32_e32 v1, 3, v87
	global_load_dwordx2 v[29:30], v3, s[14:15] offset:136
	global_load_dwordx2 v[31:32], v1, s[14:15] offset:136
	ds_read2_b32 v[33:34], v4 offset0:122 offset1:185
	ds_read2_b32 v[0:1], v0 offset0:118 offset1:181
	v_cmp_lt_u16_e32 vcc, 35, v57
	ds_read2_b32 v[39:40], v63 offset0:124 offset1:187
	ds_read2_b32 v[41:42], v47 offset1:63
	s_waitcnt lgkmcnt(3)
	v_lshrrev_b32_e32 v3, 16, v33
	s_load_dwordx2 s[2:3], s[4:5], 0x38
	s_waitcnt lgkmcnt(0)
	v_lshrrev_b32_e32 v92, 16, v39
	v_lshrrev_b32_e32 v96, 16, v41
	s_waitcnt vmcnt(3)
	v_mul_f16_sdwa v35, v33, v25 dst_sel:DWORD dst_unused:UNUSED_PAD src0_sel:DWORD src1_sel:WORD_1
	v_fma_f16 v88, v3, v25, v35
	v_mul_f16_sdwa v3, v3, v25 dst_sel:DWORD dst_unused:UNUSED_PAD src0_sel:DWORD src1_sel:WORD_1
	ds_read2_b32 v[35:36], v47 offset0:126 offset1:189
	v_fma_f16 v33, v33, v25, -v3
	v_lshrrev_b32_e32 v3, 16, v0
	v_mul_f16_sdwa v37, v0, v26 dst_sel:DWORD dst_unused:UNUSED_PAD src0_sel:DWORD src1_sel:WORD_1
	v_fma_f16 v91, v3, v26, v37
	v_mul_f16_sdwa v3, v3, v26 dst_sel:DWORD dst_unused:UNUSED_PAD src0_sel:DWORD src1_sel:WORD_1
	v_fma_f16 v0, v0, v26, -v3
	v_add_f16_e32 v3, v33, v0
	s_waitcnt lgkmcnt(0)
	v_fma_f16 v3, v3, -0.5, v35
	v_sub_f16_e32 v38, v88, v91
	v_fma_f16 v37, v38, s0, v3
	v_fma_f16 v38, v38, s1, v3
	v_mov_b32_e32 v3, 0x6c
	v_cndmask_b32_e32 v3, 0, v3, vcc
	v_add_lshl_u32 v86, v2, v3, 2
	ds_read2_b32 v[2:3], v64 offset0:120 offset1:183
	s_waitcnt vmcnt(2)
	v_mul_f16_sdwa v93, v39, v27 dst_sel:DWORD dst_unused:UNUSED_PAD src0_sel:DWORD src1_sel:WORD_1
	v_fma_f16 v93, v92, v27, v93
	v_mul_f16_sdwa v92, v92, v27 dst_sel:DWORD dst_unused:UNUSED_PAD src0_sel:DWORD src1_sel:WORD_1
	v_fma_f16 v39, v39, v27, -v92
	s_waitcnt lgkmcnt(0)
	v_lshrrev_b32_e32 v94, 16, v2
	v_mul_f16_sdwa v95, v2, v28 dst_sel:DWORD dst_unused:UNUSED_PAD src0_sel:DWORD src1_sel:WORD_1
	v_mul_f16_sdwa v92, v94, v28 dst_sel:DWORD dst_unused:UNUSED_PAD src0_sel:DWORD src1_sel:WORD_1
	v_fma_f16 v95, v94, v28, v95
	v_fma_f16 v2, v2, v28, -v92
	v_add_f16_e32 v97, v96, v93
	v_sub_f16_e32 v98, v93, v95
	v_add_f16_e32 v93, v93, v95
	v_add_f16_e32 v92, v41, v39
	;; [unrolled: 1-line block ×4, first 2 shown]
	v_fma_f16 v93, v93, -0.5, v96
	v_add_f16_e32 v92, v92, v2
	v_sub_f16_e32 v2, v39, v2
	v_fma_f16 v41, v94, -0.5, v41
	v_pack_b32_f16 v39, v92, v97
	v_fma_f16 v92, v98, s0, v41
	v_fma_f16 v94, v2, s1, v93
	v_pack_b32_f16 v92, v92, v94
	s_waitcnt lgkmcnt(0)
	; wave barrier
	ds_write2_b32 v86, v39, v92 offset1:36
	v_lshrrev_b32_e32 v39, 16, v40
	s_waitcnt vmcnt(0)
	v_mul_f16_sdwa v92, v39, v31 dst_sel:DWORD dst_unused:UNUSED_PAD src0_sel:DWORD src1_sel:WORD_1
	v_fma_f16 v92, v40, v31, -v92
	v_mul_f16_sdwa v40, v40, v31 dst_sel:DWORD dst_unused:UNUSED_PAD src0_sel:DWORD src1_sel:WORD_1
	v_fma_f16 v39, v39, v31, v40
	v_lshrrev_b32_e32 v40, 16, v3
	v_mul_f16_sdwa v94, v40, v32 dst_sel:DWORD dst_unused:UNUSED_PAD src0_sel:DWORD src1_sel:WORD_1
	v_fma_f16 v94, v3, v32, -v94
	v_mul_f16_sdwa v3, v3, v32 dst_sel:DWORD dst_unused:UNUSED_PAD src0_sel:DWORD src1_sel:WORD_1
	v_fma_f16 v2, v2, s0, v93
	v_lshrrev_b32_e32 v93, 16, v42
	v_fma_f16 v3, v40, v32, v3
	v_fma_f16 v40, v98, s1, v41
	v_add_f16_e32 v41, v92, v94
	v_add_f16_e32 v95, v93, v39
	v_fma_f16 v41, v41, -0.5, v42
	v_add_f16_e32 v42, v42, v92
	v_add_f16_e32 v95, v95, v3
	v_sub_f16_e32 v96, v39, v3
	v_add_f16_e32 v3, v39, v3
	v_pack_b32_f16 v2, v40, v2
	v_fma_f16 v3, v3, -0.5, v93
	v_add_f16_e32 v39, v42, v94
	v_sub_f16_e32 v42, v92, v94
	ds_write_b32 v86, v2 offset:288
	v_mul_u32_u24_e32 v2, 0x6c, v7
	v_add_lshl_u32 v87, v2, v87, 2
	v_pack_b32_f16 v2, v39, v95
	v_fma_f16 v7, v96, s0, v41
	v_fma_f16 v39, v42, s1, v3
	v_pack_b32_f16 v7, v7, v39
	ds_write2_b32 v87, v2, v7 offset1:36
	v_fma_f16 v2, v96, s1, v41
	v_fma_f16 v3, v42, s0, v3
	v_lshrrev_b32_e32 v7, 16, v35
	v_add_f16_e32 v40, v88, v91
	v_add_f16_e32 v35, v35, v33
	;; [unrolled: 1-line block ×3, first 2 shown]
	v_fma_f16 v7, v40, -0.5, v7
	v_add_f16_e32 v35, v35, v0
	v_sub_f16_e32 v0, v33, v0
	v_pack_b32_f16 v2, v2, v3
	v_add_f16_e32 v39, v39, v91
	ds_write_b32 v87, v2 offset:288
	v_mul_u32_u24_e32 v2, 0x6c, v43
	v_fma_f16 v92, v0, s1, v7
	v_add_lshl_u32 v88, v2, v44, 2
	v_pack_b32_f16 v2, v35, v39
	v_pack_b32_f16 v3, v37, v92
	ds_write2_b32 v88, v2, v3 offset1:36
	v_lshrrev_b32_e32 v2, 16, v34
	v_mul_f16_sdwa v33, v34, v29 dst_sel:DWORD dst_unused:UNUSED_PAD src0_sel:DWORD src1_sel:WORD_1
	v_mul_f16_sdwa v3, v2, v29 dst_sel:DWORD dst_unused:UNUSED_PAD src0_sel:DWORD src1_sel:WORD_1
	v_fma_f16 v2, v2, v29, v33
	v_lshrrev_b32_e32 v33, 16, v1
	v_fma_f16 v3, v34, v29, -v3
	v_mul_f16_sdwa v34, v33, v30 dst_sel:DWORD dst_unused:UNUSED_PAD src0_sel:DWORD src1_sel:WORD_1
	v_fma_f16 v34, v1, v30, -v34
	v_mul_f16_sdwa v1, v1, v30 dst_sel:DWORD dst_unused:UNUSED_PAD src0_sel:DWORD src1_sel:WORD_1
	v_fma_f16 v96, v0, s0, v7
	v_lshrrev_b32_e32 v7, 16, v36
	v_fma_f16 v1, v33, v30, v1
	v_add_f16_e32 v35, v7, v2
	v_add_f16_e32 v97, v35, v1
	v_sub_f16_e32 v35, v2, v1
	v_add_f16_e32 v1, v2, v1
	v_pack_b32_f16 v2, v38, v96
	v_add_f16_e32 v0, v3, v34
	ds_write_b32 v88, v2 offset:288
	v_mul_u32_u24_e32 v2, 0x6c, v89
	v_fma_f16 v0, v0, -0.5, v36
	v_add_f16_e32 v33, v36, v3
	v_fma_f16 v1, v1, -0.5, v7
	v_add_lshl_u32 v89, v2, v90, 2
	v_sub_f16_e32 v2, v3, v34
	v_add_f16_e32 v33, v33, v34
	v_fma_f16 v34, v35, s0, v0
	v_fma_f16 v98, v2, s1, v1
	v_pack_b32_f16 v3, v33, v97
	v_pack_b32_f16 v7, v34, v98
	v_fma_f16 v99, v2, s0, v1
	v_fma_f16 v43, v35, s1, v0
	ds_write2_b32 v89, v3, v7 offset1:36
	v_mov_b32_e32 v3, s13
	v_add_co_u32_e32 v39, vcc, s12, v47
	v_pack_b32_f16 v0, v43, v99
	v_addc_co_u32_e32 v40, vcc, 0, v3, vcc
	ds_write_b32 v89, v0 offset:288
	s_waitcnt lgkmcnt(0)
	; wave barrier
	s_waitcnt lgkmcnt(0)
	ds_read_b32 v100, v47 offset:2592
	ds_read2_b32 v[41:42], v47 offset1:108
	ds_read2_b32 v[2:3], v63 offset0:88 offset1:196
	ds_read2_b32 v[0:1], v64 offset0:48 offset1:156
	v_cmp_gt_u16_e32 vcc, 45, v57
                                        ; implicit-def: $vgpr95
                                        ; implicit-def: $vgpr94
                                        ; implicit-def: $vgpr93
	s_and_saveexec_b64 s[0:1], vcc
	s_cbranch_execz .LBB0_3
; %bb.2:
	ds_read2_b32 v[37:38], v47 offset0:63 offset1:171
	ds_read2_b32 v[33:34], v4 offset0:23 offset1:131
	;; [unrolled: 1-line block ×3, first 2 shown]
	ds_read_b32 v94, v47 offset:2844
	s_waitcnt lgkmcnt(3)
	v_lshrrev_b32_e32 v92, 16, v37
	v_lshrrev_b32_e32 v96, 16, v38
	s_waitcnt lgkmcnt(2)
	v_lshrrev_b32_e32 v97, 16, v33
	v_lshrrev_b32_e32 v98, 16, v34
	s_waitcnt lgkmcnt(1)
	v_lshrrev_b32_e32 v99, 16, v43
	v_lshrrev_b32_e32 v95, 16, v44
	s_waitcnt lgkmcnt(0)
	v_lshrrev_b32_e32 v93, 16, v94
.LBB0_3:
	s_or_b64 exec, exec, s[0:1]
	v_mad_u64_u32 v[35:36], s[0:1], v57, 24, s[14:15]
	v_lshlrev_b32_e32 v91, 2, v6
	v_lshlrev_b32_e32 v90, 3, v5
	global_load_dwordx4 v[4:7], v[35:36], off offset:424
	s_waitcnt lgkmcnt(2)
	v_lshrrev_b32_e32 v101, 16, v42
	global_load_dwordx2 v[35:36], v[35:36], off offset:440
	s_waitcnt lgkmcnt(1)
	v_lshrrev_b32_e32 v102, 16, v2
	v_lshrrev_b32_e32 v103, 16, v3
	s_waitcnt lgkmcnt(0)
	v_lshrrev_b32_e32 v104, 16, v0
	v_lshrrev_b32_e32 v105, 16, v1
	;; [unrolled: 1-line block ×3, first 2 shown]
	s_movk_i32 s5, 0x39e0
	s_mov_b32 s4, 0xbcab
	s_movk_i32 s6, 0x3574
	s_movk_i32 s7, 0x370e
	s_waitcnt vmcnt(1)
	v_mul_f16_sdwa v107, v101, v4 dst_sel:DWORD dst_unused:UNUSED_PAD src0_sel:DWORD src1_sel:WORD_1
	v_fma_f16 v107, v42, v4, -v107
	v_mul_f16_sdwa v42, v42, v4 dst_sel:DWORD dst_unused:UNUSED_PAD src0_sel:DWORD src1_sel:WORD_1
	v_fma_f16 v42, v101, v4, v42
	v_mul_f16_sdwa v101, v102, v5 dst_sel:DWORD dst_unused:UNUSED_PAD src0_sel:DWORD src1_sel:WORD_1
	v_fma_f16 v108, v2, v5, -v101
	v_mul_f16_sdwa v2, v2, v5 dst_sel:DWORD dst_unused:UNUSED_PAD src0_sel:DWORD src1_sel:WORD_1
	v_fma_f16 v102, v102, v5, v2
	v_mul_f16_sdwa v2, v103, v6 dst_sel:DWORD dst_unused:UNUSED_PAD src0_sel:DWORD src1_sel:WORD_1
	v_fma_f16 v109, v3, v6, -v2
	v_mul_f16_sdwa v2, v3, v6 dst_sel:DWORD dst_unused:UNUSED_PAD src0_sel:DWORD src1_sel:WORD_1
	v_fma_f16 v103, v103, v6, v2
	v_mul_f16_sdwa v2, v104, v7 dst_sel:DWORD dst_unused:UNUSED_PAD src0_sel:DWORD src1_sel:WORD_1
	v_fma_f16 v110, v0, v7, -v2
	v_mul_f16_sdwa v0, v0, v7 dst_sel:DWORD dst_unused:UNUSED_PAD src0_sel:DWORD src1_sel:WORD_1
	v_fma_f16 v104, v104, v7, v0
	s_waitcnt vmcnt(0)
	v_mul_f16_sdwa v0, v105, v35 dst_sel:DWORD dst_unused:UNUSED_PAD src0_sel:DWORD src1_sel:WORD_1
	v_fma_f16 v111, v1, v35, -v0
	v_mul_f16_sdwa v0, v1, v35 dst_sel:DWORD dst_unused:UNUSED_PAD src0_sel:DWORD src1_sel:WORD_1
	v_fma_f16 v105, v105, v35, v0
	v_mul_f16_sdwa v0, v106, v36 dst_sel:DWORD dst_unused:UNUSED_PAD src0_sel:DWORD src1_sel:WORD_1
	v_fma_f16 v112, v100, v36, -v0
	v_mul_f16_sdwa v0, v100, v36 dst_sel:DWORD dst_unused:UNUSED_PAD src0_sel:DWORD src1_sel:WORD_1
	v_fma_f16 v106, v106, v36, v0
	v_subrev_u32_e32 v0, 45, v57
	v_cndmask_b32_e32 v0, v0, v77, vcc
	v_mul_hi_i32_i24_e32 v1, 24, v0
	v_mul_i32_i24_e32 v0, 24, v0
	v_add_co_u32_e64 v100, s[0:1], s14, v0
	v_mov_b32_e32 v0, s15
	v_addc_co_u32_e64 v101, s[0:1], v0, v1, s[0:1]
	global_load_dwordx4 v[0:3], v[100:101], off offset:424
	s_movk_i32 s1, 0x3b00
	s_movk_i32 s0, 0x2b26
	s_waitcnt vmcnt(0)
	v_mul_f16_sdwa v77, v96, v0 dst_sel:DWORD dst_unused:UNUSED_PAD src0_sel:DWORD src1_sel:WORD_1
	v_fma_f16 v77, v38, v0, -v77
	v_mul_f16_sdwa v38, v38, v0 dst_sel:DWORD dst_unused:UNUSED_PAD src0_sel:DWORD src1_sel:WORD_1
	v_fma_f16 v38, v96, v0, v38
	v_mul_f16_sdwa v96, v97, v1 dst_sel:DWORD dst_unused:UNUSED_PAD src0_sel:DWORD src1_sel:WORD_1
	v_fma_f16 v96, v33, v1, -v96
	v_mul_f16_sdwa v33, v33, v1 dst_sel:DWORD dst_unused:UNUSED_PAD src0_sel:DWORD src1_sel:WORD_1
	v_fma_f16 v97, v97, v1, v33
	;; [unrolled: 4-line block ×4, first 2 shown]
	global_load_dwordx2 v[33:34], v[100:101], off offset:440
	v_add_f16_e32 v100, v42, v106
	v_sub_f16_e32 v101, v107, v112
	v_sub_f16_e32 v42, v42, v106
	v_add_f16_e32 v106, v108, v111
	v_sub_f16_e32 v108, v108, v111
	v_add_f16_e32 v111, v103, v104
	v_sub_f16_e32 v103, v104, v103
	s_waitcnt vmcnt(0)
	v_mul_f16_sdwa v99, v95, v33 dst_sel:DWORD dst_unused:UNUSED_PAD src0_sel:DWORD src1_sel:WORD_1
	v_fma_f16 v99, v44, v33, -v99
	v_mul_f16_sdwa v44, v44, v33 dst_sel:DWORD dst_unused:UNUSED_PAD src0_sel:DWORD src1_sel:WORD_1
	v_fma_f16 v44, v95, v33, v44
	v_mul_f16_sdwa v95, v93, v34 dst_sel:DWORD dst_unused:UNUSED_PAD src0_sel:DWORD src1_sel:WORD_1
	v_fma_f16 v95, v94, v34, -v95
	v_mul_f16_sdwa v94, v94, v34 dst_sel:DWORD dst_unused:UNUSED_PAD src0_sel:DWORD src1_sel:WORD_1
	v_fma_f16 v93, v93, v34, v94
	v_add_f16_e32 v94, v107, v112
	v_add_f16_e32 v107, v102, v105
	v_sub_f16_e32 v102, v102, v105
	v_add_f16_e32 v105, v109, v110
	v_sub_f16_e32 v109, v110, v109
	v_add_f16_e32 v104, v106, v94
	v_add_f16_e32 v110, v107, v100
	v_sub_f16_e32 v112, v106, v94
	v_sub_f16_e32 v115, v107, v100
	;; [unrolled: 1-line block ×6, first 2 shown]
	v_add_f16_e32 v116, v109, v108
	v_add_f16_e32 v117, v103, v102
	v_sub_f16_e32 v118, v109, v108
	v_sub_f16_e32 v119, v103, v102
	v_add_f16_e32 v104, v105, v104
	v_add_f16_e32 v105, v111, v110
	v_sub_f16_e32 v109, v101, v109
	v_sub_f16_e32 v103, v42, v103
	;; [unrolled: 1-line block ×4, first 2 shown]
	v_add_f16_e32 v101, v116, v101
	v_add_f16_e32 v42, v117, v42
	;; [unrolled: 1-line block ×3, first 2 shown]
	v_add_f16_sdwa v116, v41, v105 dst_sel:DWORD dst_unused:UNUSED_PAD src0_sel:WORD_1 src1_sel:DWORD
	v_mul_f16_e32 v41, 0x3a52, v94
	v_mul_f16_e32 v94, 0x3a52, v100
	;; [unrolled: 1-line block ×8, first 2 shown]
	v_fma_f16 v100, v112, s5, -v100
	v_fma_f16 v110, v115, s5, -v110
	s_mov_b32 s5, 0xb9e0
	v_fma_f16 v108, v108, s1, -v117
	v_fma_f16 v102, v102, s1, -v118
	s_mov_b32 s1, 0xb574
	v_fma_f16 v104, v104, s4, v111
	v_fma_f16 v105, v105, s4, v116
	;; [unrolled: 1-line block ×4, first 2 shown]
	v_fma_f16 v41, v112, s5, -v41
	v_fma_f16 v94, v115, s5, -v94
	v_fma_f16 v112, v109, s6, v117
	v_fma_f16 v115, v103, s6, v118
	v_fma_f16 v109, v109, s1, -v119
	v_fma_f16 v103, v103, s1, -v120
	v_add_f16_e32 v106, v106, v104
	v_add_f16_e32 v107, v107, v105
	;; [unrolled: 1-line block ×6, first 2 shown]
	v_fma_f16 v104, v101, s7, v112
	v_fma_f16 v105, v42, s7, v115
	;; [unrolled: 1-line block ×6, first 2 shown]
	v_add_f16_e32 v117, v42, v41
	v_sub_f16_e32 v118, v94, v101
	v_sub_f16_e32 v119, v100, v102
	v_add_f16_e32 v121, v102, v100
	v_sub_f16_e32 v123, v41, v42
	v_add_f16_e32 v124, v101, v94
	v_add_f16_e32 v41, v77, v95
	v_add_f16_e32 v42, v38, v93
	v_sub_f16_e32 v100, v77, v95
	v_add_f16_e32 v94, v96, v99
	v_add_f16_e32 v95, v97, v44
	v_sub_f16_e32 v38, v38, v93
	v_sub_f16_e32 v96, v96, v99
	;; [unrolled: 1-line block ×3, first 2 shown]
	v_add_f16_e32 v97, v113, v114
	v_add_f16_e32 v99, v98, v43
	v_sub_f16_e32 v101, v114, v113
	v_sub_f16_e32 v43, v43, v98
	v_add_f16_e32 v98, v94, v41
	v_add_f16_e32 v102, v95, v42
	;; [unrolled: 1-line block ×3, first 2 shown]
	v_sub_f16_e32 v115, v107, v104
	v_add_f16_e32 v120, v108, v110
	v_sub_f16_e32 v122, v110, v108
	v_sub_f16_e32 v125, v106, v105
	v_add_f16_e32 v126, v104, v107
	v_sub_f16_e32 v77, v94, v41
	v_sub_f16_e32 v93, v95, v42
	v_sub_f16_e32 v41, v41, v97
	v_sub_f16_e32 v42, v42, v99
	v_add_f16_e32 v103, v101, v96
	v_add_f16_e32 v104, v43, v44
	v_sub_f16_e32 v105, v101, v96
	v_sub_f16_e32 v106, v43, v44
	v_sub_f16_e32 v96, v96, v100
	v_sub_f16_e32 v107, v44, v38
	v_add_f16_e32 v108, v97, v98
	;; [unrolled: 6-line block ×3, first 2 shown]
	v_add_f16_e32 v98, v104, v38
	v_add_f16_e32 v37, v37, v108
	;; [unrolled: 1-line block ×3, first 2 shown]
	v_mul_f16_e32 v38, 0x3a52, v41
	v_mul_f16_e32 v41, 0x3a52, v42
	;; [unrolled: 1-line block ×6, first 2 shown]
	v_pack_b32_f16 v111, v111, v116
	v_pack_b32_f16 v112, v112, v115
	v_fma_f16 v96, v108, s4, v37
	v_fma_f16 v105, v109, s4, v44
	;; [unrolled: 1-line block ×4, first 2 shown]
	v_fma_f16 v38, v77, s5, -v38
	v_fma_f16 v41, v93, s5, -v41
	v_fma_f16 v106, v101, s6, v99
	v_fma_f16 v107, v43, s6, v92
	v_fma_f16 v109, v101, s1, -v102
	v_fma_f16 v43, v43, s1, -v100
	ds_write2_b32 v47, v111, v112 offset1:108
	v_pack_b32_f16 v111, v117, v118
	v_pack_b32_f16 v112, v119, v120
	v_add_f16_e32 v101, v42, v96
	v_add_f16_e32 v103, v103, v105
	;; [unrolled: 1-line block ×4, first 2 shown]
	v_fma_f16 v106, v97, s7, v106
	v_fma_f16 v107, v98, s7, v107
	;; [unrolled: 1-line block ×4, first 2 shown]
	ds_write2_b32 v63, v111, v112 offset0:88 offset1:196
	v_pack_b32_f16 v63, v121, v122
	v_pack_b32_f16 v111, v123, v124
	v_sub_f16_e32 v38, v104, v110
	v_add_f16_e32 v41, v109, v108
	v_sub_f16_e32 v42, v101, v107
	v_add_f16_e32 v43, v106, v103
	ds_write2_b32 v64, v63, v111 offset0:48 offset1:156
	v_pack_b32_f16 v63, v125, v126
	ds_write_b32 v47, v63 offset:2592
	s_and_saveexec_b64 s[0:1], vcc
	s_cbranch_execz .LBB0_5
; %bb.4:
	v_mul_f16_e32 v63, 0x2b26, v94
	v_mul_f16_e32 v64, 0x2b26, v95
	;; [unrolled: 1-line block ×6, first 2 shown]
	v_sub_f16_e32 v64, v93, v64
	v_sub_f16_e32 v93, v102, v99
	;; [unrolled: 1-line block ×4, first 2 shown]
	v_add_f16_e32 v64, v64, v105
	v_add_f16_e32 v93, v94, v93
	;; [unrolled: 1-line block ×4, first 2 shown]
	v_sub_f16_e32 v95, v103, v106
	v_add_f16_e32 v96, v107, v101
	s_mov_b32 s4, 0x5040100
	v_sub_f16_e32 v94, v64, v93
	v_add_f16_e32 v77, v92, v63
	v_add_f16_e32 v64, v93, v64
	v_sub_f16_e32 v63, v63, v92
	v_sub_f16_e32 v92, v108, v109
	v_add_f16_e32 v93, v110, v104
	v_perm_b32 v37, v44, v37, s4
	v_pack_b32_f16 v44, v96, v95
	ds_write2_b32 v47, v37, v44 offset0:63 offset1:171
	v_pack_b32_f16 v37, v93, v92
	v_pack_b32_f16 v44, v63, v64
	v_add_u32_e32 v63, 0x400, v47
	ds_write2_b32 v63, v37, v44 offset0:23 offset1:131
	v_pack_b32_f16 v37, v77, v94
	v_perm_b32 v44, v41, v38, s4
	v_add_u32_e32 v63, 0x600, v47
	ds_write2_b32 v63, v37, v44 offset0:111 offset1:219
	v_perm_b32 v37, v43, v42, s4
	ds_write_b32 v47, v37 offset:2844
.LBB0_5:
	s_or_b64 exec, exec, s[0:1]
	s_waitcnt lgkmcnt(0)
	; wave barrier
	s_waitcnt lgkmcnt(0)
	global_load_dword v39, v[39:40], off offset:3024
	ds_read2_b32 v[63:64], v47 offset1:63
	s_add_u32 s0, s12, 0xbd0
	s_addc_u32 s1, s13, 0
	v_lshlrev_b32_e32 v77, 2, v57
	s_waitcnt lgkmcnt(0)
	v_lshrrev_b32_e32 v37, 16, v63
	s_waitcnt vmcnt(0)
	v_mul_f16_sdwa v40, v37, v39 dst_sel:DWORD dst_unused:UNUSED_PAD src0_sel:DWORD src1_sel:WORD_1
	v_fma_f16 v40, v63, v39, -v40
	v_mul_f16_sdwa v44, v63, v39 dst_sel:DWORD dst_unused:UNUSED_PAD src0_sel:DWORD src1_sel:WORD_1
	global_load_dword v63, v77, s[0:1] offset:1512
	v_fma_f16 v37, v37, v39, v44
	v_pack_b32_f16 v37, v40, v37
	ds_write_b32 v47, v37
	v_add_u32_e32 v44, 0x400, v47
	ds_read2_b32 v[39:40], v44 offset0:122 offset1:185
	s_waitcnt lgkmcnt(0)
	v_lshrrev_b32_e32 v37, 16, v39
	s_waitcnt vmcnt(0)
	v_mul_f16_sdwa v92, v37, v63 dst_sel:DWORD dst_unused:UNUSED_PAD src0_sel:DWORD src1_sel:WORD_1
	v_fma_f16 v92, v39, v63, -v92
	v_mul_f16_sdwa v39, v39, v63 dst_sel:DWORD dst_unused:UNUSED_PAD src0_sel:DWORD src1_sel:WORD_1
	v_fma_f16 v37, v37, v63, v39
	global_load_dword v39, v77, s[0:1] offset:252
	v_pack_b32_f16 v94, v92, v37
	v_lshrrev_b32_e32 v37, 16, v64
	s_waitcnt vmcnt(0)
	v_mul_f16_sdwa v63, v37, v39 dst_sel:DWORD dst_unused:UNUSED_PAD src0_sel:DWORD src1_sel:WORD_1
	v_fma_f16 v63, v64, v39, -v63
	v_mul_f16_sdwa v64, v64, v39 dst_sel:DWORD dst_unused:UNUSED_PAD src0_sel:DWORD src1_sel:WORD_1
	v_fma_f16 v37, v37, v39, v64
	v_pack_b32_f16 v37, v63, v37
	global_load_dword v63, v77, s[0:1] offset:1764
	v_lshrrev_b32_e32 v39, 16, v40
	s_waitcnt vmcnt(0)
	v_mul_f16_sdwa v64, v39, v63 dst_sel:DWORD dst_unused:UNUSED_PAD src0_sel:DWORD src1_sel:WORD_1
	v_fma_f16 v64, v40, v63, -v64
	v_mul_f16_sdwa v40, v40, v63 dst_sel:DWORD dst_unused:UNUSED_PAD src0_sel:DWORD src1_sel:WORD_1
	v_fma_f16 v39, v39, v63, v40
	v_pack_b32_f16 v92, v64, v39
	global_load_dword v64, v77, s[0:1] offset:504
	ds_read2_b32 v[39:40], v47 offset0:126 offset1:189
	s_waitcnt lgkmcnt(0)
	v_lshrrev_b32_e32 v63, 16, v39
	s_waitcnt vmcnt(0)
	v_mul_f16_sdwa v93, v63, v64 dst_sel:DWORD dst_unused:UNUSED_PAD src0_sel:DWORD src1_sel:WORD_1
	v_fma_f16 v93, v39, v64, -v93
	v_mul_f16_sdwa v39, v39, v64 dst_sel:DWORD dst_unused:UNUSED_PAD src0_sel:DWORD src1_sel:WORD_1
	v_fma_f16 v39, v63, v64, v39
	v_pack_b32_f16 v39, v93, v39
	global_load_dword v93, v77, s[0:1] offset:2016
	ds_write2_b32 v47, v37, v39 offset0:63 offset1:126
	v_add_u32_e32 v39, 0x600, v47
	ds_read2_b32 v[63:64], v39 offset0:120 offset1:183
	s_waitcnt lgkmcnt(0)
	v_lshrrev_b32_e32 v37, 16, v63
	s_waitcnt vmcnt(0)
	v_mul_f16_sdwa v95, v37, v93 dst_sel:DWORD dst_unused:UNUSED_PAD src0_sel:DWORD src1_sel:WORD_1
	v_fma_f16 v95, v63, v93, -v95
	v_mul_f16_sdwa v63, v63, v93 dst_sel:DWORD dst_unused:UNUSED_PAD src0_sel:DWORD src1_sel:WORD_1
	v_fma_f16 v37, v37, v93, v63
	global_load_dword v63, v77, s[0:1] offset:756
	global_load_dword v93, v77, s[0:1] offset:1008
	v_pack_b32_f16 v37, v95, v37
	ds_write2_b32 v44, v92, v37 offset0:185 offset1:248
	v_lshrrev_b32_e32 v37, 16, v40
	s_waitcnt vmcnt(1)
	v_mul_f16_sdwa v92, v37, v63 dst_sel:DWORD dst_unused:UNUSED_PAD src0_sel:DWORD src1_sel:WORD_1
	v_fma_f16 v92, v40, v63, -v92
	v_mul_f16_sdwa v40, v40, v63 dst_sel:DWORD dst_unused:UNUSED_PAD src0_sel:DWORD src1_sel:WORD_1
	v_fma_f16 v37, v37, v63, v40
	global_load_dword v63, v77, s[0:1] offset:2268
	v_lshrrev_b32_e32 v40, 16, v64
	v_pack_b32_f16 v37, v92, v37
	s_waitcnt vmcnt(0)
	v_mul_f16_sdwa v92, v40, v63 dst_sel:DWORD dst_unused:UNUSED_PAD src0_sel:DWORD src1_sel:WORD_1
	v_fma_f16 v92, v64, v63, -v92
	v_mul_f16_sdwa v64, v64, v63 dst_sel:DWORD dst_unused:UNUSED_PAD src0_sel:DWORD src1_sel:WORD_1
	v_fma_f16 v40, v40, v63, v64
	v_pack_b32_f16 v95, v92, v40
	v_add_u32_e32 v40, 0x200, v47
	ds_read2_b32 v[63:64], v40 offset0:124 offset1:187
	s_waitcnt lgkmcnt(0)
	v_lshrrev_b32_e32 v92, 16, v63
	v_mul_f16_sdwa v96, v92, v93 dst_sel:DWORD dst_unused:UNUSED_PAD src0_sel:DWORD src1_sel:WORD_1
	v_fma_f16 v96, v63, v93, -v96
	v_mul_f16_sdwa v63, v63, v93 dst_sel:DWORD dst_unused:UNUSED_PAD src0_sel:DWORD src1_sel:WORD_1
	v_fma_f16 v63, v92, v93, v63
	v_pack_b32_f16 v63, v96, v63
	global_load_dword v96, v77, s[0:1] offset:2520
	ds_write2_b32 v47, v37, v63 offset0:189 offset1:252
	v_add_u32_e32 v37, 0x800, v47
	ds_read2_b32 v[92:93], v37 offset0:118 offset1:181
	s_waitcnt lgkmcnt(0)
	v_lshrrev_b32_e32 v63, 16, v92
	s_waitcnt vmcnt(0)
	v_mul_f16_sdwa v97, v63, v96 dst_sel:DWORD dst_unused:UNUSED_PAD src0_sel:DWORD src1_sel:WORD_1
	v_fma_f16 v97, v92, v96, -v97
	v_mul_f16_sdwa v92, v92, v96 dst_sel:DWORD dst_unused:UNUSED_PAD src0_sel:DWORD src1_sel:WORD_1
	v_fma_f16 v63, v63, v96, v92
	global_load_dword v92, v77, s[0:1] offset:1260
	v_pack_b32_f16 v63, v97, v63
	ds_write2_b32 v37, v95, v63 offset0:55 offset1:118
	v_lshrrev_b32_e32 v63, 16, v64
	s_waitcnt vmcnt(0)
	v_mul_f16_sdwa v95, v63, v92 dst_sel:DWORD dst_unused:UNUSED_PAD src0_sel:DWORD src1_sel:WORD_1
	v_fma_f16 v95, v64, v92, -v95
	v_mul_f16_sdwa v64, v64, v92 dst_sel:DWORD dst_unused:UNUSED_PAD src0_sel:DWORD src1_sel:WORD_1
	v_fma_f16 v63, v63, v92, v64
	global_load_dword v64, v77, s[0:1] offset:2772
	v_pack_b32_f16 v63, v95, v63
	ds_write2_b32 v44, v63, v94 offset0:59 offset1:122
	v_lshrrev_b32_e32 v63, 16, v93
	s_mov_b32 s0, 0xbaee
	s_movk_i32 s1, 0x3aee
	s_waitcnt vmcnt(0)
	v_mul_f16_sdwa v77, v63, v64 dst_sel:DWORD dst_unused:UNUSED_PAD src0_sel:DWORD src1_sel:WORD_1
	v_mul_f16_sdwa v92, v93, v64 dst_sel:DWORD dst_unused:UNUSED_PAD src0_sel:DWORD src1_sel:WORD_1
	v_fma_f16 v77, v93, v64, -v77
	v_fma_f16 v63, v63, v64, v92
	v_pack_b32_f16 v63, v77, v63
	ds_write_b32 v47, v63 offset:2772
	s_waitcnt lgkmcnt(0)
	; wave barrier
	s_waitcnt lgkmcnt(0)
	ds_read2_b32 v[63:64], v47 offset1:63
	ds_read2_b32 v[92:93], v44 offset0:122 offset1:185
	s_waitcnt lgkmcnt(0)
	v_pk_add_f16 v95, v63, v92 neg_lo:[0,1] neg_hi:[0,1]
	v_pk_add_f16 v93, v64, v93 neg_lo:[0,1] neg_hi:[0,1]
	v_pk_fma_f16 v94, v63, 2.0, v95 op_sel_hi:[1,0,1] neg_lo:[0,0,1] neg_hi:[0,0,1]
	v_pk_fma_f16 v92, v64, 2.0, v93 op_sel_hi:[1,0,1] neg_lo:[0,0,1] neg_hi:[0,0,1]
	ds_read2_b32 v[63:64], v47 offset0:126 offset1:189
	ds_read2_b32 v[96:97], v39 offset0:120 offset1:183
	s_waitcnt lgkmcnt(0)
	v_pk_add_f16 v99, v63, v96 neg_lo:[0,1] neg_hi:[0,1]
	v_pk_add_f16 v97, v64, v97 neg_lo:[0,1] neg_hi:[0,1]
	v_pk_fma_f16 v98, v63, 2.0, v99 op_sel_hi:[1,0,1] neg_lo:[0,0,1] neg_hi:[0,0,1]
	v_pk_fma_f16 v96, v64, 2.0, v97 op_sel_hi:[1,0,1] neg_lo:[0,0,1] neg_hi:[0,0,1]
	ds_read2_b32 v[63:64], v40 offset0:124 offset1:187
	ds_read2_b32 v[100:101], v37 offset0:118 offset1:181
	s_waitcnt lgkmcnt(0)
	; wave barrier
	s_waitcnt lgkmcnt(0)
	v_pk_add_f16 v103, v63, v100 neg_lo:[0,1] neg_hi:[0,1]
	v_pk_add_f16 v101, v64, v101 neg_lo:[0,1] neg_hi:[0,1]
	v_pk_fma_f16 v102, v63, 2.0, v103 op_sel_hi:[1,0,1] neg_lo:[0,0,1] neg_hi:[0,0,1]
	v_pk_fma_f16 v100, v64, 2.0, v101 op_sel_hi:[1,0,1] neg_lo:[0,0,1] neg_hi:[0,0,1]
	ds_write_b64 v59, v[94:95]
	ds_write_b64 v61, v[92:93]
	;; [unrolled: 1-line block ×6, first 2 shown]
	s_waitcnt lgkmcnt(0)
	; wave barrier
	s_waitcnt lgkmcnt(0)
	ds_read2_b32 v[61:62], v44 offset0:122 offset1:185
	ds_read2_b32 v[90:91], v39 offset0:120 offset1:183
	;; [unrolled: 1-line block ×3, first 2 shown]
	ds_read2_b32 v[59:60], v47 offset1:63
	ds_read2_b32 v[63:64], v47 offset0:126 offset1:189
	s_waitcnt lgkmcnt(4)
	v_lshrrev_b32_e32 v96, 16, v61
	v_mul_f16_sdwa v107, v65, v96 dst_sel:DWORD dst_unused:UNUSED_PAD src0_sel:WORD_1 src1_sel:DWORD
	v_lshrrev_b32_e32 v98, 16, v62
	v_fma_f16 v107, v65, v61, v107
	v_mul_f16_sdwa v61, v65, v61 dst_sel:DWORD dst_unused:UNUSED_PAD src0_sel:WORD_1 src1_sel:DWORD
	v_fma_f16 v61, v65, v96, -v61
	v_mul_f16_sdwa v96, v68, v98 dst_sel:DWORD dst_unused:UNUSED_PAD src0_sel:WORD_1 src1_sel:DWORD
	s_waitcnt lgkmcnt(3)
	v_lshrrev_b32_e32 v100, 16, v90
	v_lshrrev_b32_e32 v102, 16, v91
	v_fma_f16 v96, v73, v62, v96
	v_mul_f16_sdwa v62, v68, v62 dst_sel:DWORD dst_unused:UNUSED_PAD src0_sel:WORD_1 src1_sel:DWORD
	s_waitcnt lgkmcnt(2)
	v_lshrrev_b32_e32 v104, 16, v94
	v_fma_f16 v62, v73, v98, -v62
	v_mul_f16_sdwa v73, v65, v100 dst_sel:DWORD dst_unused:UNUSED_PAD src0_sel:WORD_1 src1_sel:DWORD
	v_mul_f16_e32 v98, v71, v102
	v_mul_f16_e32 v71, v71, v91
	ds_read2_b32 v[92:93], v40 offset0:124 offset1:187
	v_lshrrev_b32_e32 v106, 16, v95
	v_fma_f16 v73, v65, v90, v73
	v_mul_f16_sdwa v90, v65, v90 dst_sel:DWORD dst_unused:UNUSED_PAD src0_sel:WORD_1 src1_sel:DWORD
	v_fma_f16 v98, v70, v91, v98
	v_fma_f16 v70, v70, v102, -v71
	v_mul_f16_sdwa v71, v65, v104 dst_sel:DWORD dst_unused:UNUSED_PAD src0_sel:WORD_1 src1_sel:DWORD
	v_mul_f16_sdwa v91, v65, v94 dst_sel:DWORD dst_unused:UNUSED_PAD src0_sel:WORD_1 src1_sel:DWORD
	s_waitcnt lgkmcnt(2)
	v_lshrrev_b32_e32 v77, 16, v59
	v_fma_f16 v90, v65, v100, -v90
	v_fma_f16 v71, v65, v94, v71
	v_fma_f16 v65, v65, v104, -v91
	v_mul_f16_e32 v91, v67, v106
	v_mul_f16_e32 v67, v67, v95
	v_lshrrev_b32_e32 v97, 16, v60
	v_fma_f16 v91, v68, v95, v91
	v_fma_f16 v67, v68, v106, -v67
	v_sub_f16_e32 v68, v59, v107
	v_sub_f16_e32 v61, v77, v61
	s_waitcnt lgkmcnt(1)
	v_lshrrev_b32_e32 v99, 16, v63
	v_fma_f16 v59, v59, 2.0, -v68
	v_fma_f16 v77, v77, 2.0, -v61
	v_sub_f16_e32 v94, v60, v96
	v_sub_f16_e32 v62, v97, v62
	v_lshrrev_b32_e32 v101, 16, v64
	v_fma_f16 v60, v60, 2.0, -v94
	v_fma_f16 v95, v97, 2.0, -v62
	v_sub_f16_e32 v73, v63, v73
	v_sub_f16_e32 v90, v99, v90
	v_pack_b32_f16 v59, v59, v77
	v_pack_b32_f16 v61, v68, v61
	s_waitcnt lgkmcnt(0)
	v_lshrrev_b32_e32 v103, 16, v92
	v_fma_f16 v63, v63, 2.0, -v73
	v_fma_f16 v96, v99, 2.0, -v90
	v_sub_f16_e32 v97, v64, v98
	v_sub_f16_e32 v70, v101, v70
	s_waitcnt lgkmcnt(0)
	; wave barrier
	ds_write2_b32 v69, v59, v61 offset1:2
	v_pack_b32_f16 v59, v60, v95
	v_pack_b32_f16 v60, v94, v62
	v_lshrrev_b32_e32 v105, 16, v93
	v_fma_f16 v64, v64, 2.0, -v97
	v_fma_f16 v98, v101, 2.0, -v70
	v_sub_f16_e32 v71, v92, v71
	v_sub_f16_e32 v65, v103, v65
	ds_write2_b32 v72, v59, v60 offset1:2
	v_pack_b32_f16 v59, v63, v96
	v_pack_b32_f16 v60, v73, v90
	v_fma_f16 v92, v92, 2.0, -v71
	v_fma_f16 v99, v103, 2.0, -v65
	v_sub_f16_e32 v91, v93, v91
	v_sub_f16_e32 v67, v105, v67
	ds_write2_b32 v75, v59, v60 offset1:2
	v_pack_b32_f16 v59, v64, v98
	v_pack_b32_f16 v60, v97, v70
	v_fma_f16 v93, v93, 2.0, -v91
	v_fma_f16 v100, v105, 2.0, -v67
	ds_write2_b32 v76, v59, v60 offset1:2
	v_pack_b32_f16 v59, v92, v99
	v_pack_b32_f16 v60, v71, v65
	ds_write2_b32 v79, v59, v60 offset1:2
	v_pack_b32_f16 v59, v93, v100
	v_pack_b32_f16 v60, v91, v67
	ds_write2_b32 v80, v59, v60 offset1:2
	s_waitcnt lgkmcnt(0)
	; wave barrier
	s_waitcnt lgkmcnt(0)
	ds_read2_b32 v[61:62], v40 offset0:124 offset1:187
	ds_read2_b32 v[63:64], v39 offset0:120 offset1:183
	ds_read2_b32 v[69:70], v44 offset0:122 offset1:185
	ds_read2_b32 v[71:72], v37 offset0:118 offset1:181
	ds_read2_b32 v[59:60], v47 offset1:63
	s_waitcnt lgkmcnt(4)
	v_lshrrev_b32_e32 v73, 16, v61
	v_mul_f16_sdwa v95, v15, v73 dst_sel:DWORD dst_unused:UNUSED_PAD src0_sel:WORD_1 src1_sel:DWORD
	s_waitcnt lgkmcnt(3)
	v_lshrrev_b32_e32 v75, 16, v63
	v_fma_f16 v95, v15, v61, v95
	v_mul_f16_sdwa v61, v15, v61 dst_sel:DWORD dst_unused:UNUSED_PAD src0_sel:WORD_1 src1_sel:DWORD
	v_fma_f16 v15, v15, v73, -v61
	v_mul_f16_sdwa v61, v16, v75 dst_sel:DWORD dst_unused:UNUSED_PAD src0_sel:WORD_1 src1_sel:DWORD
	v_lshrrev_b32_e32 v77, 16, v62
	v_fma_f16 v61, v16, v63, v61
	v_mul_f16_sdwa v63, v16, v63 dst_sel:DWORD dst_unused:UNUSED_PAD src0_sel:WORD_1 src1_sel:DWORD
	v_fma_f16 v16, v16, v75, -v63
	v_mul_f16_sdwa v63, v13, v77 dst_sel:DWORD dst_unused:UNUSED_PAD src0_sel:WORD_1 src1_sel:DWORD
	;; [unrolled: 5-line block ×3, first 2 shown]
	s_waitcnt lgkmcnt(2)
	v_lshrrev_b32_e32 v90, 16, v69
	v_fma_f16 v62, v14, v64, v62
	v_mul_f16_sdwa v64, v14, v64 dst_sel:DWORD dst_unused:UNUSED_PAD src0_sel:WORD_1 src1_sel:DWORD
	v_fma_f16 v14, v14, v79, -v64
	v_mul_f16_sdwa v64, v9, v90 dst_sel:DWORD dst_unused:UNUSED_PAD src0_sel:WORD_1 src1_sel:DWORD
	s_waitcnt lgkmcnt(1)
	v_lshrrev_b32_e32 v91, 16, v71
	v_fma_f16 v64, v9, v69, v64
	v_mul_f16_sdwa v69, v9, v69 dst_sel:DWORD dst_unused:UNUSED_PAD src0_sel:WORD_1 src1_sel:DWORD
	v_fma_f16 v9, v9, v90, -v69
	v_mul_f16_sdwa v69, v10, v91 dst_sel:DWORD dst_unused:UNUSED_PAD src0_sel:WORD_1 src1_sel:DWORD
	v_lshrrev_b32_e32 v93, 16, v70
	v_fma_f16 v69, v10, v71, v69
	v_mul_f16_sdwa v71, v10, v71 dst_sel:DWORD dst_unused:UNUSED_PAD src0_sel:WORD_1 src1_sel:DWORD
	v_fma_f16 v10, v10, v91, -v71
	v_mul_f16_sdwa v71, v11, v93 dst_sel:DWORD dst_unused:UNUSED_PAD src0_sel:WORD_1 src1_sel:DWORD
	;; [unrolled: 5-line block ×3, first 2 shown]
	v_fma_f16 v70, v12, v72, v70
	v_mul_f16_sdwa v72, v12, v72 dst_sel:DWORD dst_unused:UNUSED_PAD src0_sel:WORD_1 src1_sel:DWORD
	v_add_f16_e32 v73, v95, v61
	s_waitcnt lgkmcnt(0)
	v_lshrrev_b32_e32 v65, 16, v59
	v_fma_f16 v12, v12, v94, -v72
	v_add_f16_e32 v72, v59, v95
	v_fma_f16 v59, v73, -0.5, v59
	v_sub_f16_e32 v73, v15, v16
	ds_read2_b32 v[67:68], v47 offset0:126 offset1:189
	v_fma_f16 v75, v73, s0, v59
	v_fma_f16 v59, v73, s1, v59
	v_add_f16_e32 v73, v65, v15
	v_add_f16_e32 v15, v15, v16
	;; [unrolled: 1-line block ×3, first 2 shown]
	v_fma_f16 v15, v15, -0.5, v65
	v_sub_f16_e32 v16, v95, v61
	v_add_f16_e32 v65, v63, v62
	v_lshrrev_b32_e32 v76, 16, v60
	v_add_f16_e32 v72, v72, v61
	v_fma_f16 v61, v16, s1, v15
	v_fma_f16 v15, v16, s0, v15
	v_add_f16_e32 v16, v60, v63
	v_fma_f16 v60, v65, -0.5, v60
	v_sub_f16_e32 v65, v13, v14
	v_fma_f16 v77, v65, s0, v60
	v_fma_f16 v60, v65, s1, v60
	v_add_f16_e32 v65, v76, v13
	v_add_f16_e32 v13, v13, v14
	;; [unrolled: 1-line block ×3, first 2 shown]
	v_fma_f16 v13, v13, -0.5, v76
	v_sub_f16_e32 v14, v63, v62
	v_add_f16_e32 v63, v64, v69
	s_waitcnt lgkmcnt(0)
	v_lshrrev_b32_e32 v80, 16, v67
	v_add_f16_e32 v16, v16, v62
	v_fma_f16 v62, v14, s1, v13
	v_fma_f16 v13, v14, s0, v13
	v_add_f16_e32 v14, v67, v64
	v_fma_f16 v63, v63, -0.5, v67
	v_sub_f16_e32 v67, v9, v10
	v_fma_f16 v76, v67, s0, v63
	v_fma_f16 v63, v67, s1, v63
	v_add_f16_e32 v67, v80, v9
	v_add_f16_e32 v9, v9, v10
	;; [unrolled: 1-line block ×4, first 2 shown]
	v_fma_f16 v9, v9, -0.5, v80
	v_sub_f16_e32 v10, v64, v69
	v_add_f16_e32 v69, v71, v70
	v_lshrrev_b32_e32 v92, 16, v68
	v_fma_f16 v64, v10, s1, v9
	v_fma_f16 v9, v10, s0, v9
	v_add_f16_e32 v10, v68, v71
	v_fma_f16 v68, v69, -0.5, v68
	v_sub_f16_e32 v69, v11, v12
	v_fma_f16 v79, v69, s0, v68
	v_fma_f16 v68, v69, s1, v68
	v_add_f16_e32 v69, v92, v11
	v_add_f16_e32 v11, v11, v12
	;; [unrolled: 1-line block ×3, first 2 shown]
	v_fma_f16 v11, v11, -0.5, v92
	v_sub_f16_e32 v12, v71, v70
	v_add_f16_e32 v10, v10, v70
	v_fma_f16 v70, v12, s1, v11
	v_fma_f16 v11, v12, s0, v11
	v_pack_b32_f16 v12, v72, v73
	v_pack_b32_f16 v61, v75, v61
	s_waitcnt lgkmcnt(0)
	; wave barrier
	ds_write2_b32 v66, v12, v61 offset1:4
	v_pack_b32_f16 v12, v59, v15
	ds_write_b32 v66, v12 offset:32
	v_pack_b32_f16 v12, v16, v65
	v_pack_b32_f16 v15, v77, v62
	ds_write2_b32 v74, v12, v15 offset1:4
	v_pack_b32_f16 v12, v60, v13
	v_pack_b32_f16 v9, v63, v9
	ds_write_b32 v74, v12 offset:32
	v_pack_b32_f16 v12, v14, v67
	v_pack_b32_f16 v13, v76, v64
	ds_write_b32 v78, v9 offset:32
	v_pack_b32_f16 v9, v10, v69
	v_pack_b32_f16 v10, v79, v70
	ds_write2_b32 v78, v12, v13 offset1:4
	ds_write2_b32 v81, v9, v10 offset1:4
	v_pack_b32_f16 v9, v68, v11
	ds_write_b32 v81, v9 offset:32
	s_waitcnt lgkmcnt(0)
	; wave barrier
	s_waitcnt lgkmcnt(0)
	ds_read2_b32 v[11:12], v40 offset0:124 offset1:187
	ds_read2_b32 v[13:14], v39 offset0:120 offset1:183
	;; [unrolled: 1-line block ×4, first 2 shown]
	ds_read2_b32 v[9:10], v47 offset1:63
	s_waitcnt lgkmcnt(4)
	v_lshrrev_b32_e32 v64, 16, v11
	v_mul_f16_sdwa v75, v17, v64 dst_sel:DWORD dst_unused:UNUSED_PAD src0_sel:WORD_1 src1_sel:DWORD
	s_waitcnt lgkmcnt(3)
	v_lshrrev_b32_e32 v65, 16, v13
	v_fma_f16 v75, v17, v11, v75
	v_mul_f16_sdwa v11, v17, v11 dst_sel:DWORD dst_unused:UNUSED_PAD src0_sel:WORD_1 src1_sel:DWORD
	v_fma_f16 v11, v17, v64, -v11
	v_mul_f16_sdwa v17, v18, v65 dst_sel:DWORD dst_unused:UNUSED_PAD src0_sel:WORD_1 src1_sel:DWORD
	v_lshrrev_b32_e32 v67, 16, v12
	v_fma_f16 v17, v18, v13, v17
	v_mul_f16_sdwa v13, v18, v13 dst_sel:DWORD dst_unused:UNUSED_PAD src0_sel:WORD_1 src1_sel:DWORD
	v_fma_f16 v13, v18, v65, -v13
	v_mul_f16_sdwa v18, v19, v67 dst_sel:DWORD dst_unused:UNUSED_PAD src0_sel:WORD_1 src1_sel:DWORD
	;; [unrolled: 5-line block ×3, first 2 shown]
	s_waitcnt lgkmcnt(2)
	v_lshrrev_b32_e32 v70, 16, v59
	v_fma_f16 v19, v20, v14, v19
	v_mul_f16_sdwa v14, v20, v14 dst_sel:DWORD dst_unused:UNUSED_PAD src0_sel:WORD_1 src1_sel:DWORD
	v_fma_f16 v14, v20, v68, -v14
	v_mul_f16_sdwa v20, v21, v70 dst_sel:DWORD dst_unused:UNUSED_PAD src0_sel:WORD_1 src1_sel:DWORD
	s_waitcnt lgkmcnt(1)
	v_lshrrev_b32_e32 v71, 16, v61
	v_fma_f16 v20, v21, v59, v20
	v_mul_f16_sdwa v59, v21, v59 dst_sel:DWORD dst_unused:UNUSED_PAD src0_sel:WORD_1 src1_sel:DWORD
	v_fma_f16 v21, v21, v70, -v59
	v_mul_f16_sdwa v59, v22, v71 dst_sel:DWORD dst_unused:UNUSED_PAD src0_sel:WORD_1 src1_sel:DWORD
	v_lshrrev_b32_e32 v73, 16, v60
	v_fma_f16 v59, v22, v61, v59
	v_mul_f16_sdwa v61, v22, v61 dst_sel:DWORD dst_unused:UNUSED_PAD src0_sel:WORD_1 src1_sel:DWORD
	v_fma_f16 v22, v22, v71, -v61
	v_mul_f16_sdwa v61, v23, v73 dst_sel:DWORD dst_unused:UNUSED_PAD src0_sel:WORD_1 src1_sel:DWORD
	v_lshrrev_b32_e32 v74, 16, v62
	v_fma_f16 v61, v23, v60, v61
	v_mul_f16_sdwa v60, v23, v60 dst_sel:DWORD dst_unused:UNUSED_PAD src0_sel:WORD_1 src1_sel:DWORD
	v_fma_f16 v23, v23, v73, -v60
	v_mul_f16_sdwa v60, v24, v74 dst_sel:DWORD dst_unused:UNUSED_PAD src0_sel:WORD_1 src1_sel:DWORD
	v_fma_f16 v60, v24, v62, v60
	v_mul_f16_sdwa v62, v24, v62 dst_sel:DWORD dst_unused:UNUSED_PAD src0_sel:WORD_1 src1_sel:DWORD
	v_add_f16_e32 v64, v75, v17
	s_waitcnt lgkmcnt(0)
	v_lshrrev_b32_e32 v63, 16, v9
	v_fma_f16 v24, v24, v74, -v62
	v_add_f16_e32 v62, v9, v75
	v_fma_f16 v9, v64, -0.5, v9
	v_sub_f16_e32 v64, v11, v13
	ds_read2_b32 v[15:16], v47 offset0:126 offset1:189
	v_fma_f16 v65, v64, s0, v9
	v_fma_f16 v9, v64, s1, v9
	v_add_f16_e32 v64, v63, v11
	v_add_f16_e32 v11, v11, v13
	;; [unrolled: 1-line block ×3, first 2 shown]
	v_fma_f16 v11, v11, -0.5, v63
	v_sub_f16_e32 v13, v75, v17
	v_add_f16_e32 v63, v18, v19
	v_lshrrev_b32_e32 v66, 16, v10
	v_add_f16_e32 v62, v62, v17
	v_fma_f16 v17, v13, s1, v11
	v_fma_f16 v11, v13, s0, v11
	v_add_f16_e32 v13, v10, v18
	v_fma_f16 v10, v63, -0.5, v10
	v_sub_f16_e32 v63, v12, v14
	v_fma_f16 v67, v63, s0, v10
	v_fma_f16 v10, v63, s1, v10
	v_add_f16_e32 v63, v66, v12
	v_add_f16_e32 v12, v12, v14
	v_add_f16_e32 v13, v13, v19
	v_add_f16_e32 v63, v63, v14
	v_fma_f16 v12, v12, -0.5, v66
	v_sub_f16_e32 v14, v18, v19
	v_add_f16_e32 v19, v20, v59
	s_waitcnt lgkmcnt(0)
	v_lshrrev_b32_e32 v69, 16, v15
	v_fma_f16 v18, v14, s1, v12
	v_fma_f16 v12, v14, s0, v12
	v_add_f16_e32 v14, v15, v20
	v_fma_f16 v15, v19, -0.5, v15
	v_sub_f16_e32 v19, v21, v22
	v_fma_f16 v66, v19, s0, v15
	v_fma_f16 v15, v19, s1, v15
	v_add_f16_e32 v19, v69, v21
	v_add_f16_e32 v21, v21, v22
	;; [unrolled: 1-line block ×3, first 2 shown]
	v_fma_f16 v21, v21, -0.5, v69
	v_sub_f16_e32 v20, v20, v59
	v_add_f16_e32 v59, v61, v60
	v_lshrrev_b32_e32 v72, 16, v16
	v_add_f16_e32 v19, v19, v22
	v_fma_f16 v22, v20, s1, v21
	v_fma_f16 v20, v20, s0, v21
	v_add_f16_e32 v21, v16, v61
	v_fma_f16 v16, v59, -0.5, v16
	v_sub_f16_e32 v59, v23, v24
	v_fma_f16 v68, v59, s0, v16
	v_fma_f16 v16, v59, s1, v16
	v_add_f16_e32 v59, v72, v23
	v_add_f16_e32 v23, v23, v24
	;; [unrolled: 1-line block ×3, first 2 shown]
	v_fma_f16 v23, v23, -0.5, v72
	v_sub_f16_e32 v24, v61, v60
	v_pack_b32_f16 v9, v9, v11
	v_add_f16_e32 v21, v21, v60
	v_fma_f16 v60, v24, s1, v23
	v_fma_f16 v23, v24, s0, v23
	s_waitcnt lgkmcnt(0)
	; wave barrier
	v_pack_b32_f16 v24, v62, v64
	v_pack_b32_f16 v17, v65, v17
	ds_write_b32 v82, v9 offset:96
	v_pack_b32_f16 v9, v13, v63
	v_pack_b32_f16 v11, v67, v18
	ds_write2_b32 v82, v24, v17 offset1:12
	ds_write2_b32 v83, v9, v11 offset1:12
	v_pack_b32_f16 v9, v10, v12
	ds_write_b32 v83, v9 offset:96
	v_pack_b32_f16 v9, v14, v19
	v_pack_b32_f16 v10, v66, v22
	ds_write2_b32 v84, v9, v10 offset1:12
	v_pack_b32_f16 v9, v15, v20
	ds_write_b32 v84, v9 offset:96
	v_pack_b32_f16 v9, v21, v59
	v_pack_b32_f16 v10, v68, v60
	ds_write2_b32 v85, v9, v10 offset1:12
	v_pack_b32_f16 v9, v16, v23
	ds_write_b32 v85, v9 offset:96
	s_waitcnt lgkmcnt(0)
	; wave barrier
	s_waitcnt lgkmcnt(0)
	ds_read2_b32 v[11:12], v40 offset0:124 offset1:187
	ds_read2_b32 v[13:14], v39 offset0:120 offset1:183
	;; [unrolled: 1-line block ×4, first 2 shown]
	ds_read2_b32 v[9:10], v47 offset1:63
	s_waitcnt lgkmcnt(4)
	v_lshrrev_b32_e32 v22, 16, v11
	v_mul_f16_sdwa v66, v27, v22 dst_sel:DWORD dst_unused:UNUSED_PAD src0_sel:WORD_1 src1_sel:DWORD
	s_waitcnt lgkmcnt(3)
	v_lshrrev_b32_e32 v23, 16, v13
	v_fma_f16 v66, v27, v11, v66
	v_mul_f16_sdwa v11, v27, v11 dst_sel:DWORD dst_unused:UNUSED_PAD src0_sel:WORD_1 src1_sel:DWORD
	v_fma_f16 v11, v27, v22, -v11
	v_mul_f16_sdwa v22, v28, v23 dst_sel:DWORD dst_unused:UNUSED_PAD src0_sel:WORD_1 src1_sel:DWORD
	s_waitcnt lgkmcnt(2)
	v_lshrrev_b32_e32 v62, 16, v17
	v_fma_f16 v22, v28, v13, v22
	v_mul_f16_sdwa v13, v28, v13 dst_sel:DWORD dst_unused:UNUSED_PAD src0_sel:WORD_1 src1_sel:DWORD
	v_fma_f16 v13, v28, v23, -v13
	;; [unrolled: 6-line block ×3, first 2 shown]
	v_mul_f16_sdwa v25, v26, v37 dst_sel:DWORD dst_unused:UNUSED_PAD src0_sel:WORD_1 src1_sel:DWORD
	v_lshrrev_b32_e32 v64, 16, v18
	v_fma_f16 v25, v26, v19, v25
	v_mul_f16_sdwa v19, v26, v19 dst_sel:DWORD dst_unused:UNUSED_PAD src0_sel:WORD_1 src1_sel:DWORD
	v_fma_f16 v19, v26, v37, -v19
	v_mul_f16_sdwa v26, v29, v64 dst_sel:DWORD dst_unused:UNUSED_PAD src0_sel:WORD_1 src1_sel:DWORD
	v_lshrrev_b32_e32 v65, 16, v20
	v_fma_f16 v26, v29, v18, v26
	v_mul_f16_sdwa v18, v29, v18 dst_sel:DWORD dst_unused:UNUSED_PAD src0_sel:WORD_1 src1_sel:DWORD
	v_lshrrev_b32_e32 v59, 16, v12
	v_fma_f16 v18, v29, v64, -v18
	v_mul_f16_sdwa v29, v30, v65 dst_sel:DWORD dst_unused:UNUSED_PAD src0_sel:WORD_1 src1_sel:DWORD
	v_mul_f16_sdwa v23, v31, v59 dst_sel:DWORD dst_unused:UNUSED_PAD src0_sel:WORD_1 src1_sel:DWORD
	v_fma_f16 v29, v30, v20, v29
	v_mul_f16_sdwa v20, v30, v20 dst_sel:DWORD dst_unused:UNUSED_PAD src0_sel:WORD_1 src1_sel:DWORD
	v_lshrrev_b32_e32 v60, 16, v14
	v_fma_f16 v23, v31, v12, v23
	v_mul_f16_sdwa v12, v31, v12 dst_sel:DWORD dst_unused:UNUSED_PAD src0_sel:WORD_1 src1_sel:DWORD
	v_fma_f16 v30, v30, v65, -v20
	s_waitcnt lgkmcnt(0)
	v_add_f16_e32 v20, v9, v66
	v_fma_f16 v12, v31, v59, -v12
	v_mul_f16_sdwa v27, v32, v60 dst_sel:DWORD dst_unused:UNUSED_PAD src0_sel:WORD_1 src1_sel:DWORD
	v_add_f16_e32 v31, v20, v22
	v_add_f16_e32 v20, v66, v22
	v_lshrrev_b32_e32 v21, 16, v9
	v_fma_f16 v27, v32, v14, v27
	v_mul_f16_sdwa v14, v32, v14 dst_sel:DWORD dst_unused:UNUSED_PAD src0_sel:WORD_1 src1_sel:DWORD
	v_fma_f16 v9, v20, -0.5, v9
	v_sub_f16_e32 v20, v11, v13
	v_fma_f16 v14, v32, v60, -v14
	v_fma_f16 v32, v20, s0, v9
	v_fma_f16 v59, v20, s1, v9
	v_add_f16_e32 v9, v21, v11
	v_add_f16_e32 v60, v9, v13
	;; [unrolled: 1-line block ×3, first 2 shown]
	v_fma_f16 v9, v9, -0.5, v21
	v_sub_f16_e32 v11, v66, v22
	v_fma_f16 v13, v11, s1, v9
	v_fma_f16 v62, v11, s0, v9
	v_add_f16_e32 v9, v10, v23
	ds_read2_b32 v[15:16], v47 offset0:126 offset1:189
	v_add_f16_e32 v64, v9, v27
	v_add_f16_e32 v9, v23, v27
	v_lshrrev_b32_e32 v24, 16, v10
	v_fma_f16 v9, v9, -0.5, v10
	v_sub_f16_e32 v10, v12, v14
	v_fma_f16 v65, v10, s0, v9
	v_fma_f16 v66, v10, s1, v9
	v_add_f16_e32 v9, v24, v12
	v_add_f16_e32 v67, v9, v14
	;; [unrolled: 1-line block ×3, first 2 shown]
	v_fma_f16 v9, v9, -0.5, v24
	v_sub_f16_e32 v10, v23, v27
	v_fma_f16 v14, v10, s1, v9
	v_fma_f16 v24, v10, s0, v9
	s_waitcnt lgkmcnt(0)
	v_add_f16_e32 v9, v15, v28
	v_add_f16_e32 v27, v9, v25
	;; [unrolled: 1-line block ×3, first 2 shown]
	v_lshrrev_b32_e32 v61, 16, v15
	v_fma_f16 v10, v9, -0.5, v15
	v_sub_f16_e32 v11, v17, v19
	v_fma_f16 v9, v11, s0, v10
	v_fma_f16 v10, v11, s1, v10
	v_add_f16_e32 v11, v61, v17
	v_add_f16_e32 v15, v11, v19
	;; [unrolled: 1-line block ×3, first 2 shown]
	v_fma_f16 v11, v11, -0.5, v61
	v_sub_f16_e32 v12, v28, v25
	v_fma_f16 v19, v12, s1, v11
	v_fma_f16 v21, v12, s0, v11
	v_add_f16_e32 v12, v26, v29
	v_lshrrev_b32_e32 v63, 16, v16
	v_add_f16_e32 v11, v16, v26
	v_fma_f16 v16, v12, -0.5, v16
	v_sub_f16_e32 v17, v18, v30
	v_fma_f16 v12, v17, s0, v16
	v_fma_f16 v37, v17, s1, v16
	v_add_f16_e32 v16, v63, v18
	v_add_f16_e32 v20, v16, v30
	;; [unrolled: 1-line block ×3, first 2 shown]
	v_fma_f16 v16, v16, -0.5, v63
	v_sub_f16_e32 v17, v26, v29
	v_fma_f16 v23, v17, s1, v16
	v_fma_f16 v22, v17, s0, v16
	v_pack_b32_f16 v16, v31, v60
	v_pack_b32_f16 v13, v32, v13
	s_waitcnt lgkmcnt(0)
	; wave barrier
	ds_write2_b32 v86, v16, v13 offset1:36
	v_pack_b32_f16 v13, v59, v62
	ds_write_b32 v86, v13 offset:288
	v_pack_b32_f16 v13, v64, v67
	v_pack_b32_f16 v14, v65, v14
	ds_write2_b32 v87, v13, v14 offset1:36
	v_pack_b32_f16 v13, v66, v24
	ds_write_b32 v87, v13 offset:288
	v_pack_b32_f16 v13, v27, v15
	v_pack_b32_f16 v14, v9, v19
	v_add_f16_e32 v11, v11, v29
	ds_write2_b32 v88, v13, v14 offset1:36
	v_pack_b32_f16 v13, v10, v21
	ds_write_b32 v88, v13 offset:288
	v_pack_b32_f16 v13, v11, v20
	v_pack_b32_f16 v14, v12, v23
	ds_write2_b32 v89, v13, v14 offset1:36
	v_pack_b32_f16 v13, v37, v22
	ds_write_b32 v89, v13 offset:288
	s_waitcnt lgkmcnt(0)
	; wave barrier
	s_waitcnt lgkmcnt(0)
	ds_read2_b32 v[13:14], v47 offset1:108
	ds_read2_b32 v[17:18], v40 offset0:88 offset1:196
	ds_read2_b32 v[15:16], v39 offset0:48 offset1:156
	ds_read_b32 v24, v47 offset:2592
	s_and_saveexec_b64 s[0:1], vcc
	s_cbranch_execz .LBB0_7
; %bb.6:
	ds_read2_b32 v[9:10], v47 offset0:63 offset1:171
	ds_read2_b32 v[11:12], v44 offset0:23 offset1:131
	;; [unrolled: 1-line block ×3, first 2 shown]
	ds_read_b32 v42, v47 offset:2844
	s_waitcnt lgkmcnt(3)
	v_lshrrev_b32_e32 v19, 16, v9
	v_lshrrev_b32_e32 v21, 16, v10
	s_waitcnt lgkmcnt(2)
	v_lshrrev_b32_e32 v20, 16, v11
	v_lshrrev_b32_e32 v23, 16, v12
	;; [unrolled: 3-line block ×3, first 2 shown]
	s_waitcnt lgkmcnt(0)
	v_lshrrev_b32_e32 v43, 16, v42
.LBB0_7:
	s_or_b64 exec, exec, s[0:1]
	s_waitcnt lgkmcnt(3)
	v_lshrrev_b32_e32 v25, 16, v14
	v_mul_f16_sdwa v31, v4, v25 dst_sel:DWORD dst_unused:UNUSED_PAD src0_sel:WORD_1 src1_sel:DWORD
	s_waitcnt lgkmcnt(2)
	v_lshrrev_b32_e32 v26, 16, v17
	v_fma_f16 v31, v4, v14, v31
	v_mul_f16_sdwa v14, v4, v14 dst_sel:DWORD dst_unused:UNUSED_PAD src0_sel:WORD_1 src1_sel:DWORD
	v_fma_f16 v4, v4, v25, -v14
	v_mul_f16_sdwa v14, v5, v26 dst_sel:DWORD dst_unused:UNUSED_PAD src0_sel:WORD_1 src1_sel:DWORD
	v_lshrrev_b32_e32 v27, 16, v18
	v_fma_f16 v14, v5, v17, v14
	v_mul_f16_sdwa v17, v5, v17 dst_sel:DWORD dst_unused:UNUSED_PAD src0_sel:WORD_1 src1_sel:DWORD
	v_fma_f16 v5, v5, v26, -v17
	v_mul_f16_sdwa v17, v6, v27 dst_sel:DWORD dst_unused:UNUSED_PAD src0_sel:WORD_1 src1_sel:DWORD
	s_waitcnt lgkmcnt(1)
	v_lshrrev_b32_e32 v28, 16, v15
	v_fma_f16 v17, v6, v18, v17
	v_mul_f16_sdwa v18, v6, v18 dst_sel:DWORD dst_unused:UNUSED_PAD src0_sel:WORD_1 src1_sel:DWORD
	v_fma_f16 v6, v6, v27, -v18
	v_mul_f16_sdwa v18, v7, v28 dst_sel:DWORD dst_unused:UNUSED_PAD src0_sel:WORD_1 src1_sel:DWORD
	v_lshrrev_b32_e32 v29, 16, v16
	s_waitcnt lgkmcnt(0)
	v_lshrrev_b32_e32 v30, 16, v24
	v_fma_f16 v18, v7, v15, v18
	v_mul_f16_sdwa v15, v7, v15 dst_sel:DWORD dst_unused:UNUSED_PAD src0_sel:WORD_1 src1_sel:DWORD
	v_fma_f16 v7, v7, v28, -v15
	v_mul_f16_sdwa v15, v35, v29 dst_sel:DWORD dst_unused:UNUSED_PAD src0_sel:WORD_1 src1_sel:DWORD
	v_mul_f16_sdwa v25, v36, v30 dst_sel:DWORD dst_unused:UNUSED_PAD src0_sel:WORD_1 src1_sel:DWORD
	v_fma_f16 v15, v35, v16, v15
	v_mul_f16_sdwa v16, v35, v16 dst_sel:DWORD dst_unused:UNUSED_PAD src0_sel:WORD_1 src1_sel:DWORD
	v_fma_f16 v25, v36, v24, v25
	v_mul_f16_sdwa v24, v36, v24 dst_sel:DWORD dst_unused:UNUSED_PAD src0_sel:WORD_1 src1_sel:DWORD
	v_fma_f16 v16, v35, v29, -v16
	v_fma_f16 v24, v36, v30, -v24
	v_add_f16_e32 v26, v31, v25
	v_add_f16_e32 v27, v4, v24
	v_sub_f16_e32 v4, v4, v24
	v_add_f16_e32 v24, v14, v15
	v_add_f16_e32 v28, v5, v16
	v_sub_f16_e32 v25, v31, v25
	v_sub_f16_e32 v14, v14, v15
	;; [unrolled: 1-line block ×3, first 2 shown]
	v_add_f16_e32 v15, v17, v18
	v_add_f16_e32 v16, v6, v7
	v_sub_f16_e32 v17, v18, v17
	v_sub_f16_e32 v6, v7, v6
	v_add_f16_e32 v7, v24, v26
	v_add_f16_e32 v18, v28, v27
	v_sub_f16_e32 v29, v24, v26
	v_sub_f16_e32 v30, v28, v27
	;; [unrolled: 1-line block ×6, first 2 shown]
	v_add_f16_e32 v31, v17, v14
	v_add_f16_e32 v32, v6, v5
	v_sub_f16_e32 v35, v17, v14
	v_sub_f16_e32 v36, v6, v5
	;; [unrolled: 1-line block ×4, first 2 shown]
	v_add_f16_e32 v7, v15, v7
	v_add_f16_e32 v15, v16, v18
	v_sub_f16_e32 v17, v25, v17
	v_sub_f16_e32 v6, v4, v6
	v_add_f16_e32 v16, v31, v25
	v_add_f16_e32 v4, v32, v4
	v_add_f16_e32 v18, v13, v7
	v_add_f16_sdwa v13, v13, v15 dst_sel:DWORD dst_unused:UNUSED_PAD src0_sel:WORD_1 src1_sel:DWORD
	v_mul_f16_e32 v25, 0x3a52, v26
	v_mul_f16_e32 v26, 0x3a52, v27
	s_movk_i32 s13, 0x2b26
	v_mul_f16_e32 v27, 0x2b26, v24
	v_mul_f16_e32 v31, 0x2b26, v28
	;; [unrolled: 1-line block ×4, first 2 shown]
	s_mov_b32 s4, 0xbb00
	v_mul_f16_e32 v36, 0xbb00, v14
	v_mul_f16_e32 v44, 0xbb00, v5
	s_mov_b32 s14, 0xbcab
	s_movk_i32 s5, 0x39e0
	s_mov_b32 s6, 0xb9e0
	s_mov_b32 s15, 0xb574
	s_movk_i32 s7, 0x3574
	v_fma_f16 v7, v7, s14, v18
	v_fma_f16 v15, v15, s14, v13
	;; [unrolled: 1-line block ×4, first 2 shown]
	v_fma_f16 v27, v29, s5, -v27
	v_fma_f16 v31, v30, s5, -v31
	;; [unrolled: 1-line block ×4, first 2 shown]
	v_fma_f16 v29, v17, s15, v32
	v_fma_f16 v30, v6, s15, v35
	v_fma_f16 v14, v14, s4, -v32
	v_fma_f16 v5, v5, s4, -v35
	;; [unrolled: 1-line block ×4, first 2 shown]
	s_mov_b32 s12, 0xb70e
	v_add_f16_e32 v24, v24, v7
	v_add_f16_e32 v28, v28, v15
	;; [unrolled: 1-line block ×6, first 2 shown]
	v_fma_f16 v25, v16, s12, v29
	v_fma_f16 v26, v4, s12, v30
	;; [unrolled: 1-line block ×6, first 2 shown]
	v_add_f16_e32 v6, v26, v24
	v_sub_f16_e32 v17, v28, v25
	v_add_f16_e32 v29, v4, v7
	v_sub_f16_e32 v32, v27, v5
	v_add_f16_e32 v35, v14, v31
	v_add_f16_e32 v5, v5, v27
	v_sub_f16_e32 v14, v31, v14
	v_sub_f16_e32 v4, v7, v4
	v_add_f16_e32 v7, v16, v15
	v_sub_f16_e32 v30, v15, v16
	v_sub_f16_e32 v15, v24, v26
	v_add_f16_e32 v16, v25, v28
	v_pack_b32_f16 v13, v18, v13
	v_pack_b32_f16 v6, v6, v17
	;; [unrolled: 1-line block ×4, first 2 shown]
	ds_write2_b32 v47, v13, v6 offset1:108
	v_pack_b32_f16 v6, v29, v30
	v_pack_b32_f16 v13, v32, v35
	ds_write2_b32 v39, v5, v4 offset0:48 offset1:156
	v_pack_b32_f16 v4, v15, v16
	ds_write2_b32 v40, v6, v13 offset0:88 offset1:196
	ds_write_b32 v47, v4 offset:2592
	s_and_saveexec_b64 s[0:1], vcc
	s_cbranch_execz .LBB0_9
; %bb.8:
	v_mul_f16_sdwa v13, v2, v23 dst_sel:DWORD dst_unused:UNUSED_PAD src0_sel:WORD_1 src1_sel:DWORD
	v_fma_f16 v13, v2, v12, v13
	v_mul_f16_sdwa v12, v2, v12 dst_sel:DWORD dst_unused:UNUSED_PAD src0_sel:WORD_1 src1_sel:DWORD
	v_mul_f16_sdwa v4, v0, v21 dst_sel:DWORD dst_unused:UNUSED_PAD src0_sel:WORD_1 src1_sel:DWORD
	v_mul_f16_sdwa v7, v3, v22 dst_sel:DWORD dst_unused:UNUSED_PAD src0_sel:WORD_1 src1_sel:DWORD
	v_mul_f16_sdwa v16, v1, v20 dst_sel:DWORD dst_unused:UNUSED_PAD src0_sel:WORD_1 src1_sel:DWORD
	v_fma_f16 v2, v2, v23, -v12
	v_mul_f16_sdwa v12, v3, v37 dst_sel:DWORD dst_unused:UNUSED_PAD src0_sel:WORD_1 src1_sel:DWORD
	v_fma_f16 v4, v0, v10, v4
	v_fma_f16 v7, v3, v37, v7
	;; [unrolled: 1-line block ×3, first 2 shown]
	v_mul_f16_sdwa v26, v34, v42 dst_sel:DWORD dst_unused:UNUSED_PAD src0_sel:WORD_1 src1_sel:DWORD
	v_mul_f16_sdwa v10, v0, v10 dst_sel:DWORD dst_unused:UNUSED_PAD src0_sel:WORD_1 src1_sel:DWORD
	v_fma_f16 v3, v3, v22, -v12
	v_mul_f16_sdwa v22, v33, v38 dst_sel:DWORD dst_unused:UNUSED_PAD src0_sel:WORD_1 src1_sel:DWORD
	v_mul_f16_sdwa v11, v1, v11 dst_sel:DWORD dst_unused:UNUSED_PAD src0_sel:WORD_1 src1_sel:DWORD
	;; [unrolled: 1-line block ×4, first 2 shown]
	v_fma_f16 v26, v34, v43, -v26
	v_fma_f16 v0, v0, v21, -v10
	;; [unrolled: 1-line block ×4, first 2 shown]
	v_fma_f16 v5, v34, v42, v5
	v_fma_f16 v17, v33, v38, v17
	v_add_f16_e32 v10, v26, v0
	v_add_f16_e32 v12, v3, v2
	;; [unrolled: 1-line block ×3, first 2 shown]
	v_sub_f16_e32 v0, v0, v26
	v_sub_f16_e32 v2, v3, v2
	;; [unrolled: 1-line block ×6, first 2 shown]
	v_add_f16_e32 v4, v5, v4
	v_add_f16_e32 v5, v7, v13
	;; [unrolled: 1-line block ×3, first 2 shown]
	v_sub_f16_e32 v3, v0, v2
	v_sub_f16_e32 v22, v2, v1
	v_add_f16_e32 v2, v2, v1
	v_sub_f16_e32 v15, v6, v14
	v_sub_f16_e32 v24, v14, v18
	v_add_f16_e32 v14, v14, v18
	v_add_f16_e32 v27, v11, v10
	;; [unrolled: 1-line block ×4, first 2 shown]
	v_sub_f16_e32 v0, v1, v0
	v_add_f16_e32 v14, v14, v6
	v_sub_f16_e32 v21, v10, v12
	v_sub_f16_e32 v20, v12, v11
	v_add_f16_e32 v12, v12, v27
	v_sub_f16_e32 v7, v4, v5
	v_sub_f16_e32 v16, v5, v13
	v_add_f16_e32 v5, v5, v28
	v_mul_f16_e32 v22, 0x3846, v22
	v_sub_f16_e32 v6, v18, v6
	v_mul_f16_e32 v1, 0xbb00, v0
	v_mul_f16_e32 v24, 0x3846, v24
	;; [unrolled: 1-line block ×4, first 2 shown]
	v_add_f16_e32 v19, v19, v12
	v_mul_f16_e32 v7, 0x3a52, v7
	v_mul_f16_e32 v17, 0x2b26, v16
	v_add_f16_e32 v9, v9, v5
	v_fma_f16 v26, v3, s15, v22
	v_mul_f16_e32 v18, 0xbb00, v6
	v_sub_f16_e32 v10, v11, v10
	v_sub_f16_e32 v4, v13, v4
	v_fma_f16 v1, v3, s7, -v1
	v_fma_f16 v0, v0, s4, -v22
	v_fma_f16 v25, v15, s15, v24
	v_fma_f16 v20, v20, s13, v21
	;; [unrolled: 1-line block ×6, first 2 shown]
	v_fma_f16 v15, v15, s7, -v18
	v_fma_f16 v11, v10, s6, -v21
	v_fma_f16 v7, v4, s6, -v7
	v_fma_f16 v1, v2, s12, v1
	v_fma_f16 v10, v10, s5, -v23
	v_fma_f16 v6, v6, s4, -v24
	v_fma_f16 v0, v2, s12, v0
	v_fma_f16 v2, v4, s5, -v17
	v_fma_f16 v25, v14, s12, v25
	v_add_f16_e32 v20, v20, v12
	v_add_f16_e32 v16, v16, v5
	v_fma_f16 v15, v14, s12, v15
	v_add_f16_e32 v11, v11, v12
	v_add_f16_e32 v7, v7, v5
	;; [unrolled: 1-line block ×3, first 2 shown]
	v_fma_f16 v6, v14, s12, v6
	v_add_f16_e32 v2, v2, v5
	v_sub_f16_e32 v3, v7, v1
	v_sub_f16_e32 v12, v10, v6
	v_add_f16_e32 v4, v0, v2
	v_add_f16_e32 v5, v6, v10
	v_sub_f16_e32 v0, v2, v0
	v_sub_f16_e32 v2, v11, v15
	v_add_f16_e32 v1, v1, v7
	v_sub_f16_e32 v6, v20, v25
	v_add_f16_e32 v7, v26, v16
	v_add_f16_e32 v18, v15, v11
	v_pack_b32_f16 v9, v9, v19
	v_pack_b32_f16 v6, v7, v6
	;; [unrolled: 1-line block ×4, first 2 shown]
	v_add_u32_e32 v2, 0x400, v47
	v_add_f16_e32 v27, v25, v20
	v_sub_f16_e32 v28, v16, v26
	ds_write2_b32 v47, v9, v6 offset0:63 offset1:171
	ds_write2_b32 v2, v1, v0 offset0:23 offset1:131
	v_pack_b32_f16 v0, v4, v12
	v_pack_b32_f16 v1, v3, v18
	v_add_u32_e32 v2, 0x600, v47
	ds_write2_b32 v2, v0, v1 offset0:111 offset1:219
	v_pack_b32_f16 v0, v28, v27
	ds_write_b32 v47, v0 offset:2844
.LBB0_9:
	s_or_b64 exec, exec, s[0:1]
	s_waitcnt lgkmcnt(0)
	; wave barrier
	s_waitcnt lgkmcnt(0)
	ds_read2_b32 v[0:1], v47 offset1:63
	s_mov_b32 s4, 0x6b015ac0
	s_mov_b32 s5, 0x3f55ac05
	v_mad_u64_u32 v[4:5], s[0:1], s10, v8, 0
	s_waitcnt lgkmcnt(0)
	v_lshrrev_b32_e32 v7, 16, v0
	v_mul_f16_sdwa v2, v58, v7 dst_sel:DWORD dst_unused:UNUSED_PAD src0_sel:WORD_1 src1_sel:DWORD
	v_fma_f16 v2, v58, v0, v2
	v_cvt_f32_f16_e32 v2, v2
	s_movk_i32 s6, 0x1ff
	v_mad_u64_u32 v[5:6], s[0:1], s11, v8, v[5:6]
	v_cvt_f64_f32_e32 v[2:3], v2
	s_movk_i32 s7, 0xffe
	v_mul_f16_sdwa v0, v58, v0 dst_sel:DWORD dst_unused:UNUSED_PAD src0_sel:WORD_1 src1_sel:DWORD
	v_fma_f16 v0, v58, v7, -v0
	v_mul_f64 v[2:3], v[2:3], s[4:5]
	v_cvt_f32_f16_e32 v7, v0
	v_mov_b32_e32 v0, 0x7c00
	s_movk_i32 s10, 0x40f
	s_mov_b32 s11, 0x8000
	v_and_or_b32 v2, v3, s6, v2
	v_cmp_ne_u32_e32 vcc, 0, v2
	v_lshrrev_b32_e32 v6, 8, v3
	v_bfe_u32 v8, v3, 20, 11
	v_cndmask_b32_e64 v2, 0, 1, vcc
	v_sub_u32_e32 v9, 0x3f1, v8
	v_and_or_b32 v2, v6, s7, v2
	v_or_b32_e32 v6, 0x1000, v2
	v_med3_i32 v9, v9, 0, 13
	v_lshrrev_b32_e32 v10, v9, v6
	v_lshlrev_b32_e32 v9, v9, v10
	v_cmp_ne_u32_e32 vcc, v9, v6
	v_cndmask_b32_e64 v6, 0, 1, vcc
	v_add_u32_e32 v8, 0xfffffc10, v8
	v_or_b32_e32 v6, v10, v6
	v_lshl_or_b32 v9, v8, 12, v2
	v_cmp_gt_i32_e32 vcc, 1, v8
	v_cndmask_b32_e32 v6, v9, v6, vcc
	v_and_b32_e32 v9, 7, v6
	v_cmp_lt_i32_e32 vcc, 5, v9
	v_cmp_eq_u32_e64 s[0:1], 3, v9
	v_lshrrev_b32_e32 v6, 2, v6
	s_or_b64 vcc, s[0:1], vcc
	v_addc_co_u32_e32 v9, vcc, 0, v6, vcc
	v_cvt_f64_f32_e32 v[6:7], v7
	v_cmp_gt_i32_e32 vcc, 31, v8
	v_cndmask_b32_e32 v9, v0, v9, vcc
	v_cmp_ne_u32_e32 vcc, 0, v2
	v_mul_f64 v[6:7], v[6:7], s[4:5]
	v_cndmask_b32_e64 v2, 0, 1, vcc
	v_lshl_or_b32 v2, v2, 9, v0
	v_cmp_eq_u32_e32 vcc, s10, v8
	v_cndmask_b32_e32 v2, v9, v2, vcc
	v_lshrrev_b32_e32 v3, 16, v3
	v_and_or_b32 v10, v3, s11, v2
	v_and_b32_e32 v10, 0xffff, v10
	v_and_or_b32 v2, v7, s6, v6
	v_cmp_ne_u32_e32 vcc, 0, v2
	v_cndmask_b32_e64 v2, 0, 1, vcc
	v_lshrrev_b32_e32 v3, 8, v7
	v_bfe_u32 v6, v7, 20, 11
	v_and_or_b32 v2, v3, s7, v2
	v_sub_u32_e32 v8, 0x3f1, v6
	v_or_b32_e32 v3, 0x1000, v2
	v_med3_i32 v8, v8, 0, 13
	v_lshrrev_b32_e32 v9, v8, v3
	v_lshlrev_b32_e32 v8, v8, v9
	v_cmp_ne_u32_e32 vcc, v8, v3
	v_cndmask_b32_e64 v3, 0, 1, vcc
	v_add_u32_e32 v6, 0xfffffc10, v6
	v_or_b32_e32 v3, v9, v3
	v_lshl_or_b32 v8, v6, 12, v2
	v_cmp_gt_i32_e32 vcc, 1, v6
	v_cndmask_b32_e32 v3, v8, v3, vcc
	v_and_b32_e32 v8, 7, v3
	v_cmp_lt_i32_e32 vcc, 5, v8
	v_cmp_eq_u32_e64 s[0:1], 3, v8
	v_lshrrev_b32_e32 v3, 2, v3
	s_or_b64 vcc, s[0:1], vcc
	v_addc_co_u32_e32 v3, vcc, 0, v3, vcc
	v_cmp_gt_i32_e32 vcc, 31, v6
	v_cndmask_b32_e32 v3, v0, v3, vcc
	v_cmp_ne_u32_e32 vcc, 0, v2
	v_cndmask_b32_e64 v2, 0, 1, vcc
	v_cmp_eq_u32_e32 vcc, s10, v6
	v_add_u32_e32 v6, 0x400, v47
	v_lshrrev_b32_e32 v9, 16, v7
	ds_read2_b32 v[6:7], v6 offset0:122 offset1:185
	v_lshl_or_b32 v2, v2, 9, v0
	v_cndmask_b32_e32 v8, v3, v2, vcc
	v_mad_u64_u32 v[2:3], s[0:1], s8, v57, 0
	s_waitcnt lgkmcnt(0)
	v_lshrrev_b32_e32 v12, 16, v6
	v_and_or_b32 v11, v9, s11, v8
	v_mad_u64_u32 v[8:9], s[0:1], s9, v57, v[3:4]
	v_mul_f16_sdwa v3, v56, v12 dst_sel:DWORD dst_unused:UNUSED_PAD src0_sel:WORD_1 src1_sel:DWORD
	v_fma_f16 v3, v56, v6, v3
	v_cvt_f32_f16_e32 v9, v3
	v_mov_b32_e32 v3, v8
	v_lshlrev_b64 v[4:5], 2, v[4:5]
	v_lshl_or_b32 v10, v11, 16, v10
	v_cvt_f64_f32_e32 v[8:9], v9
	v_mov_b32_e32 v11, s3
	v_add_co_u32_e32 v4, vcc, s2, v4
	v_mul_f64 v[8:9], v[8:9], s[4:5]
	v_lshlrev_b64 v[2:3], 2, v[2:3]
	v_addc_co_u32_e32 v5, vcc, v11, v5, vcc
	v_add_co_u32_e32 v2, vcc, v4, v2
	v_addc_co_u32_e32 v3, vcc, v5, v3, vcc
	v_and_or_b32 v4, v9, s6, v8
	v_cmp_ne_u32_e32 vcc, 0, v4
	v_cndmask_b32_e64 v4, 0, 1, vcc
	v_lshrrev_b32_e32 v5, 8, v9
	v_and_or_b32 v8, v5, s7, v4
	v_bfe_u32 v5, v9, 20, 11
	global_store_dword v[2:3], v10, off
	v_sub_u32_e32 v10, 0x3f1, v5
	v_or_b32_e32 v4, 0x1000, v8
	v_med3_i32 v10, v10, 0, 13
	v_lshrrev_b32_e32 v11, v10, v4
	v_lshlrev_b32_e32 v10, v10, v11
	v_mul_f16_sdwa v6, v56, v6 dst_sel:DWORD dst_unused:UNUSED_PAD src0_sel:WORD_1 src1_sel:DWORD
	v_cmp_ne_u32_e32 vcc, v10, v4
	v_fma_f16 v6, v56, v12, -v6
	v_cndmask_b32_e64 v4, 0, 1, vcc
	v_add_u32_e32 v10, 0xfffffc10, v5
	v_cvt_f32_f16_e32 v6, v6
	v_or_b32_e32 v4, v11, v4
	v_lshl_or_b32 v5, v10, 12, v8
	v_cmp_gt_i32_e32 vcc, 1, v10
	v_cndmask_b32_e32 v4, v5, v4, vcc
	v_and_b32_e32 v5, 7, v4
	v_cmp_lt_i32_e32 vcc, 5, v5
	v_cmp_eq_u32_e64 s[0:1], 3, v5
	v_lshrrev_b32_e32 v11, 2, v4
	v_cvt_f64_f32_e32 v[4:5], v6
	s_or_b64 vcc, s[0:1], vcc
	v_addc_co_u32_e32 v6, vcc, 0, v11, vcc
	v_mul_f64 v[4:5], v[4:5], s[4:5]
	v_cmp_gt_i32_e32 vcc, 31, v10
	v_cndmask_b32_e32 v6, v0, v6, vcc
	v_cmp_ne_u32_e32 vcc, 0, v8
	v_cndmask_b32_e64 v8, 0, 1, vcc
	v_lshl_or_b32 v8, v8, 9, v0
	v_cmp_eq_u32_e32 vcc, s10, v10
	v_cndmask_b32_e32 v6, v6, v8, vcc
	v_and_or_b32 v4, v5, s6, v4
	v_lshrrev_b32_e32 v8, 16, v9
	v_cmp_ne_u32_e32 vcc, 0, v4
	v_and_or_b32 v6, v8, s11, v6
	v_cndmask_b32_e64 v4, 0, 1, vcc
	v_lshrrev_b32_e32 v8, 8, v5
	v_bfe_u32 v9, v5, 20, 11
	v_and_or_b32 v4, v8, s7, v4
	v_sub_u32_e32 v10, 0x3f1, v9
	v_or_b32_e32 v8, 0x1000, v4
	v_med3_i32 v10, v10, 0, 13
	v_lshrrev_b32_e32 v11, v10, v8
	v_lshlrev_b32_e32 v10, v10, v11
	v_cmp_ne_u32_e32 vcc, v10, v8
	v_cndmask_b32_e64 v8, 0, 1, vcc
	v_add_u32_e32 v9, 0xfffffc10, v9
	v_or_b32_e32 v8, v11, v8
	v_lshl_or_b32 v10, v9, 12, v4
	v_cmp_gt_i32_e32 vcc, 1, v9
	v_cndmask_b32_e32 v8, v10, v8, vcc
	v_and_b32_e32 v10, 7, v8
	v_cmp_lt_i32_e32 vcc, 5, v10
	v_cmp_eq_u32_e64 s[0:1], 3, v10
	v_lshrrev_b32_e32 v8, 2, v8
	s_or_b64 vcc, s[0:1], vcc
	v_addc_co_u32_e32 v8, vcc, 0, v8, vcc
	v_cmp_gt_i32_e32 vcc, 31, v9
	v_cndmask_b32_e32 v8, v0, v8, vcc
	v_cmp_ne_u32_e32 vcc, 0, v4
	v_cndmask_b32_e64 v4, 0, 1, vcc
	v_lshl_or_b32 v4, v4, 9, v0
	v_cmp_eq_u32_e32 vcc, s10, v9
	v_cndmask_b32_e32 v4, v8, v4, vcc
	v_lshrrev_b32_e32 v8, 16, v1
	v_mul_f16_sdwa v9, v55, v8 dst_sel:DWORD dst_unused:UNUSED_PAD src0_sel:WORD_1 src1_sel:DWORD
	v_fma_f16 v9, v55, v1, v9
	v_cvt_f32_f16_e32 v9, v9
	v_lshrrev_b32_e32 v5, 16, v5
	v_and_or_b32 v4, v5, s11, v4
	v_and_b32_e32 v5, 0xffff, v6
	v_lshl_or_b32 v6, v4, 16, v5
	v_cvt_f64_f32_e32 v[4:5], v9
	s_mul_i32 s0, s9, 0x5e8
	s_mul_hi_u32 s2, s8, 0x5e8
	s_add_i32 s2, s2, s0
	v_mul_f64 v[4:5], v[4:5], s[4:5]
	s_mul_i32 s3, s8, 0x5e8
	v_mov_b32_e32 v9, s2
	v_add_co_u32_e32 v2, vcc, s3, v2
	v_addc_co_u32_e32 v3, vcc, v3, v9, vcc
	global_store_dword v[2:3], v6, off
	v_and_or_b32 v4, v5, s6, v4
	v_cmp_ne_u32_e32 vcc, 0, v4
	v_cndmask_b32_e64 v4, 0, 1, vcc
	v_lshrrev_b32_e32 v6, 8, v5
	v_bfe_u32 v9, v5, 20, 11
	v_and_or_b32 v4, v6, s7, v4
	v_sub_u32_e32 v10, 0x3f1, v9
	v_or_b32_e32 v6, 0x1000, v4
	v_med3_i32 v10, v10, 0, 13
	v_lshrrev_b32_e32 v11, v10, v6
	v_lshlrev_b32_e32 v10, v10, v11
	v_mul_f16_sdwa v1, v55, v1 dst_sel:DWORD dst_unused:UNUSED_PAD src0_sel:WORD_1 src1_sel:DWORD
	v_cmp_ne_u32_e32 vcc, v10, v6
	v_fma_f16 v1, v55, v8, -v1
	v_cndmask_b32_e64 v6, 0, 1, vcc
	v_add_u32_e32 v10, 0xfffffc10, v9
	v_cvt_f32_f16_e32 v1, v1
	v_or_b32_e32 v6, v11, v6
	v_lshl_or_b32 v9, v10, 12, v4
	v_cmp_gt_i32_e32 vcc, 1, v10
	v_cndmask_b32_e32 v6, v9, v6, vcc
	v_and_b32_e32 v9, 7, v6
	v_cmp_lt_i32_e32 vcc, 5, v9
	v_cmp_eq_u32_e64 s[0:1], 3, v9
	v_cvt_f64_f32_e32 v[8:9], v1
	v_lshrrev_b32_e32 v6, 2, v6
	s_or_b64 vcc, s[0:1], vcc
	v_addc_co_u32_e32 v1, vcc, 0, v6, vcc
	v_mul_f64 v[8:9], v[8:9], s[4:5]
	v_cmp_gt_i32_e32 vcc, 31, v10
	v_cndmask_b32_e32 v1, v0, v1, vcc
	v_cmp_ne_u32_e32 vcc, 0, v4
	v_cndmask_b32_e64 v4, 0, 1, vcc
	v_lshl_or_b32 v4, v4, 9, v0
	v_cmp_eq_u32_e32 vcc, s10, v10
	v_cndmask_b32_e32 v1, v1, v4, vcc
	v_lshrrev_b32_e32 v4, 16, v5
	v_and_or_b32 v1, v4, s11, v1
	v_and_or_b32 v4, v9, s6, v8
	v_cmp_ne_u32_e32 vcc, 0, v4
	v_cndmask_b32_e64 v4, 0, 1, vcc
	v_lshrrev_b32_e32 v5, 8, v9
	v_bfe_u32 v6, v9, 20, 11
	v_and_or_b32 v4, v5, s7, v4
	v_sub_u32_e32 v8, 0x3f1, v6
	v_or_b32_e32 v5, 0x1000, v4
	v_med3_i32 v8, v8, 0, 13
	v_lshrrev_b32_e32 v10, v8, v5
	v_lshlrev_b32_e32 v8, v8, v10
	v_cmp_ne_u32_e32 vcc, v8, v5
	v_cndmask_b32_e64 v5, 0, 1, vcc
	v_add_u32_e32 v6, 0xfffffc10, v6
	v_or_b32_e32 v5, v10, v5
	v_lshl_or_b32 v8, v6, 12, v4
	v_cmp_gt_i32_e32 vcc, 1, v6
	v_cndmask_b32_e32 v5, v8, v5, vcc
	v_and_b32_e32 v8, 7, v5
	v_cmp_lt_i32_e32 vcc, 5, v8
	v_cmp_eq_u32_e64 s[0:1], 3, v8
	v_lshrrev_b32_e32 v5, 2, v5
	s_or_b64 vcc, s[0:1], vcc
	v_addc_co_u32_e32 v5, vcc, 0, v5, vcc
	v_cmp_gt_i32_e32 vcc, 31, v6
	v_cndmask_b32_e32 v5, v0, v5, vcc
	v_cmp_ne_u32_e32 vcc, 0, v4
	v_cndmask_b32_e64 v4, 0, 1, vcc
	v_lshl_or_b32 v4, v4, 9, v0
	v_cmp_eq_u32_e32 vcc, s10, v6
	v_cndmask_b32_e32 v4, v5, v4, vcc
	v_lshrrev_b32_e32 v5, 16, v9
	v_lshrrev_b32_e32 v6, 16, v7
	v_and_or_b32 v4, v5, s11, v4
	v_mul_f16_sdwa v5, v54, v6 dst_sel:DWORD dst_unused:UNUSED_PAD src0_sel:WORD_1 src1_sel:DWORD
	v_fma_f16 v5, v54, v7, v5
	v_cvt_f32_f16_e32 v5, v5
	v_and_b32_e32 v1, 0xffff, v1
	v_lshl_or_b32 v8, v4, 16, v1
	s_mul_hi_u32 s1, s8, 0xfffffb14
	v_cvt_f64_f32_e32 v[4:5], v5
	s_mul_i32 s0, s9, 0xfffffb14
	s_sub_i32 s9, s1, s8
	s_add_i32 s9, s9, s0
	v_mul_f64 v[4:5], v[4:5], s[4:5]
	s_mulk_i32 s8, 0xfb14
	v_mov_b32_e32 v9, s9
	v_add_co_u32_e32 v1, vcc, s8, v2
	v_addc_co_u32_e32 v2, vcc, v3, v9, vcc
	global_store_dword v[1:2], v8, off
	v_and_or_b32 v3, v5, s6, v4
	v_cmp_ne_u32_e32 vcc, 0, v3
	v_cndmask_b32_e64 v3, 0, 1, vcc
	v_lshrrev_b32_e32 v4, 8, v5
	v_and_or_b32 v8, v4, s7, v3
	v_bfe_u32 v4, v5, 20, 11
	v_sub_u32_e32 v9, 0x3f1, v4
	v_or_b32_e32 v3, 0x1000, v8
	v_med3_i32 v9, v9, 0, 13
	v_lshrrev_b32_e32 v10, v9, v3
	v_lshlrev_b32_e32 v9, v9, v10
	v_mul_f16_sdwa v7, v54, v7 dst_sel:DWORD dst_unused:UNUSED_PAD src0_sel:WORD_1 src1_sel:DWORD
	v_cmp_ne_u32_e32 vcc, v9, v3
	v_fma_f16 v6, v54, v6, -v7
	v_cndmask_b32_e64 v3, 0, 1, vcc
	v_add_u32_e32 v9, 0xfffffc10, v4
	v_cvt_f32_f16_e32 v6, v6
	v_or_b32_e32 v3, v10, v3
	v_lshl_or_b32 v4, v9, 12, v8
	v_cmp_gt_i32_e32 vcc, 1, v9
	v_cndmask_b32_e32 v3, v4, v3, vcc
	v_and_b32_e32 v4, 7, v3
	v_cmp_lt_i32_e32 vcc, 5, v4
	v_cmp_eq_u32_e64 s[0:1], 3, v4
	v_lshrrev_b32_e32 v7, 2, v3
	v_cvt_f64_f32_e32 v[3:4], v6
	s_or_b64 vcc, s[0:1], vcc
	v_addc_co_u32_e32 v6, vcc, 0, v7, vcc
	v_mul_f64 v[3:4], v[3:4], s[4:5]
	v_cmp_gt_i32_e32 vcc, 31, v9
	v_cndmask_b32_e32 v6, v0, v6, vcc
	v_cmp_ne_u32_e32 vcc, 0, v8
	v_cndmask_b32_e64 v7, 0, 1, vcc
	v_lshl_or_b32 v7, v7, 9, v0
	v_cmp_eq_u32_e32 vcc, s10, v9
	v_cndmask_b32_e32 v6, v6, v7, vcc
	v_and_or_b32 v3, v4, s6, v3
	v_lshrrev_b32_e32 v5, 16, v5
	v_cmp_ne_u32_e32 vcc, 0, v3
	v_and_or_b32 v9, v5, s11, v6
	v_cndmask_b32_e64 v3, 0, 1, vcc
	v_lshrrev_b32_e32 v5, 8, v4
	v_bfe_u32 v6, v4, 20, 11
	v_and_or_b32 v3, v5, s7, v3
	v_sub_u32_e32 v7, 0x3f1, v6
	v_or_b32_e32 v5, 0x1000, v3
	v_med3_i32 v7, v7, 0, 13
	v_lshrrev_b32_e32 v8, v7, v5
	v_lshlrev_b32_e32 v7, v7, v8
	v_cmp_ne_u32_e32 vcc, v7, v5
	v_cndmask_b32_e64 v5, 0, 1, vcc
	v_add_u32_e32 v7, 0xfffffc10, v6
	v_or_b32_e32 v5, v8, v5
	v_lshl_or_b32 v6, v7, 12, v3
	v_cmp_gt_i32_e32 vcc, 1, v7
	v_cndmask_b32_e32 v5, v6, v5, vcc
	v_and_b32_e32 v6, 7, v5
	v_cmp_lt_i32_e32 vcc, 5, v6
	v_cmp_eq_u32_e64 s[0:1], 3, v6
	v_lshrrev_b32_e32 v5, 2, v5
	s_or_b64 vcc, s[0:1], vcc
	v_addc_co_u32_e32 v8, vcc, 0, v5, vcc
	ds_read2_b32 v[5:6], v47 offset0:126 offset1:189
	v_cmp_gt_i32_e32 vcc, 31, v7
	v_cndmask_b32_e32 v8, v0, v8, vcc
	v_cmp_ne_u32_e32 vcc, 0, v3
	v_cndmask_b32_e64 v3, 0, 1, vcc
	s_waitcnt lgkmcnt(0)
	v_lshrrev_b32_e32 v10, 16, v5
	v_mul_f16_sdwa v11, v53, v10 dst_sel:DWORD dst_unused:UNUSED_PAD src0_sel:WORD_1 src1_sel:DWORD
	v_fma_f16 v11, v53, v5, v11
	v_cvt_f32_f16_e32 v11, v11
	v_lshl_or_b32 v3, v3, 9, v0
	v_cmp_eq_u32_e32 vcc, s10, v7
	v_cndmask_b32_e32 v3, v8, v3, vcc
	v_cvt_f64_f32_e32 v[7:8], v11
	v_lshrrev_b32_e32 v4, 16, v4
	v_and_or_b32 v11, v4, s11, v3
	v_add_co_u32_e32 v1, vcc, s3, v1
	v_mul_f64 v[3:4], v[7:8], s[4:5]
	v_mov_b32_e32 v8, s2
	v_and_b32_e32 v9, 0xffff, v9
	v_addc_co_u32_e32 v2, vcc, v2, v8, vcc
	v_lshl_or_b32 v7, v11, 16, v9
	global_store_dword v[1:2], v7, off
	v_mul_f16_sdwa v5, v53, v5 dst_sel:DWORD dst_unused:UNUSED_PAD src0_sel:WORD_1 src1_sel:DWORD
	v_and_or_b32 v3, v4, s6, v3
	v_cmp_ne_u32_e32 vcc, 0, v3
	v_cndmask_b32_e64 v3, 0, 1, vcc
	v_lshrrev_b32_e32 v7, 8, v4
	v_bfe_u32 v8, v4, 20, 11
	v_and_or_b32 v3, v7, s7, v3
	v_sub_u32_e32 v9, 0x3f1, v8
	v_or_b32_e32 v7, 0x1000, v3
	v_med3_i32 v9, v9, 0, 13
	v_lshrrev_b32_e32 v11, v9, v7
	v_lshlrev_b32_e32 v9, v9, v11
	v_cmp_ne_u32_e32 vcc, v9, v7
	v_fma_f16 v5, v53, v10, -v5
	v_cndmask_b32_e64 v7, 0, 1, vcc
	v_add_u32_e32 v9, 0xfffffc10, v8
	v_cvt_f32_f16_e32 v5, v5
	v_or_b32_e32 v7, v11, v7
	v_lshl_or_b32 v8, v9, 12, v3
	v_cmp_gt_i32_e32 vcc, 1, v9
	v_cndmask_b32_e32 v7, v8, v7, vcc
	v_and_b32_e32 v8, 7, v7
	v_cmp_lt_i32_e32 vcc, 5, v8
	v_cmp_eq_u32_e64 s[0:1], 3, v8
	v_lshrrev_b32_e32 v10, 2, v7
	v_cvt_f64_f32_e32 v[7:8], v5
	s_or_b64 vcc, s[0:1], vcc
	v_addc_co_u32_e32 v5, vcc, 0, v10, vcc
	v_mul_f64 v[7:8], v[7:8], s[4:5]
	v_cmp_gt_i32_e32 vcc, 31, v9
	v_cndmask_b32_e32 v5, v0, v5, vcc
	v_cmp_ne_u32_e32 vcc, 0, v3
	v_cndmask_b32_e64 v3, 0, 1, vcc
	v_lshl_or_b32 v3, v3, 9, v0
	v_cmp_eq_u32_e32 vcc, s10, v9
	v_cndmask_b32_e32 v3, v5, v3, vcc
	v_lshrrev_b32_e32 v4, 16, v4
	v_and_or_b32 v5, v4, s11, v3
	v_and_or_b32 v3, v8, s6, v7
	v_cmp_ne_u32_e32 vcc, 0, v3
	v_cndmask_b32_e64 v3, 0, 1, vcc
	v_lshrrev_b32_e32 v4, 8, v8
	v_and_or_b32 v7, v4, s7, v3
	v_bfe_u32 v4, v8, 20, 11
	v_sub_u32_e32 v9, 0x3f1, v4
	v_or_b32_e32 v3, 0x1000, v7
	v_med3_i32 v9, v9, 0, 13
	v_lshrrev_b32_e32 v10, v9, v3
	v_lshlrev_b32_e32 v9, v9, v10
	v_cmp_ne_u32_e32 vcc, v9, v3
	v_cndmask_b32_e64 v3, 0, 1, vcc
	v_add_u32_e32 v9, 0xfffffc10, v4
	v_or_b32_e32 v3, v10, v3
	v_lshl_or_b32 v4, v9, 12, v7
	v_cmp_gt_i32_e32 vcc, 1, v9
	v_cndmask_b32_e32 v3, v4, v3, vcc
	v_and_b32_e32 v4, 7, v3
	v_cmp_lt_i32_e32 vcc, 5, v4
	v_cmp_eq_u32_e64 s[0:1], 3, v4
	v_lshrrev_b32_e32 v3, 2, v3
	s_or_b64 vcc, s[0:1], vcc
	v_addc_co_u32_e32 v10, vcc, 0, v3, vcc
	v_add_u32_e32 v3, 0x600, v47
	ds_read2_b32 v[3:4], v3 offset0:120 offset1:183
	v_cmp_gt_i32_e32 vcc, 31, v9
	v_cndmask_b32_e32 v10, v0, v10, vcc
	v_cmp_ne_u32_e32 vcc, 0, v7
	v_cndmask_b32_e64 v7, 0, 1, vcc
	s_waitcnt lgkmcnt(0)
	v_lshrrev_b32_e32 v11, 16, v3
	v_mul_f16_sdwa v12, v52, v11 dst_sel:DWORD dst_unused:UNUSED_PAD src0_sel:WORD_1 src1_sel:DWORD
	v_fma_f16 v12, v52, v3, v12
	v_cvt_f32_f16_e32 v12, v12
	v_lshl_or_b32 v7, v7, 9, v0
	v_cmp_eq_u32_e32 vcc, s10, v9
	v_cndmask_b32_e32 v7, v10, v7, vcc
	v_cvt_f64_f32_e32 v[9:10], v12
	v_lshrrev_b32_e32 v8, 16, v8
	v_and_or_b32 v12, v8, s11, v7
	v_and_b32_e32 v5, 0xffff, v5
	v_mul_f64 v[7:8], v[9:10], s[4:5]
	v_mov_b32_e32 v9, s9
	v_add_co_u32_e32 v1, vcc, s8, v1
	v_lshl_or_b32 v5, v12, 16, v5
	v_addc_co_u32_e32 v2, vcc, v2, v9, vcc
	global_store_dword v[1:2], v5, off
	v_and_or_b32 v5, v8, s6, v7
	v_cmp_ne_u32_e32 vcc, 0, v5
	v_cndmask_b32_e64 v5, 0, 1, vcc
	v_lshrrev_b32_e32 v7, 8, v8
	v_bfe_u32 v9, v8, 20, 11
	v_and_or_b32 v5, v7, s7, v5
	v_sub_u32_e32 v10, 0x3f1, v9
	v_or_b32_e32 v7, 0x1000, v5
	v_med3_i32 v10, v10, 0, 13
	v_lshrrev_b32_e32 v12, v10, v7
	v_lshlrev_b32_e32 v10, v10, v12
	v_cmp_ne_u32_e32 vcc, v10, v7
	v_mul_f16_sdwa v3, v52, v3 dst_sel:DWORD dst_unused:UNUSED_PAD src0_sel:WORD_1 src1_sel:DWORD
	v_cndmask_b32_e64 v7, 0, 1, vcc
	v_fma_f16 v3, v52, v11, -v3
	v_or_b32_e32 v7, v12, v7
	v_add_u32_e32 v12, 0xfffffc10, v9
	v_cvt_f32_f16_e32 v3, v3
	v_lshl_or_b32 v9, v12, 12, v5
	v_cmp_gt_i32_e32 vcc, 1, v12
	v_cndmask_b32_e32 v7, v9, v7, vcc
	v_and_b32_e32 v9, 7, v7
	v_cmp_lt_i32_e32 vcc, 5, v9
	v_cmp_eq_u32_e64 s[0:1], 3, v9
	v_cvt_f64_f32_e32 v[9:10], v3
	v_lshrrev_b32_e32 v7, 2, v7
	s_or_b64 vcc, s[0:1], vcc
	v_addc_co_u32_e32 v3, vcc, 0, v7, vcc
	v_mul_f64 v[9:10], v[9:10], s[4:5]
	v_cmp_gt_i32_e32 vcc, 31, v12
	v_cndmask_b32_e32 v3, v0, v3, vcc
	v_cmp_ne_u32_e32 vcc, 0, v5
	v_cndmask_b32_e64 v5, 0, 1, vcc
	v_lshl_or_b32 v5, v5, 9, v0
	v_cmp_eq_u32_e32 vcc, s10, v12
	v_cndmask_b32_e32 v3, v3, v5, vcc
	v_lshrrev_b32_e32 v5, 16, v8
	v_and_or_b32 v3, v5, s11, v3
	v_and_or_b32 v5, v10, s6, v9
	v_cmp_ne_u32_e32 vcc, 0, v5
	v_cndmask_b32_e64 v5, 0, 1, vcc
	v_lshrrev_b32_e32 v7, 8, v10
	v_bfe_u32 v8, v10, 20, 11
	v_and_or_b32 v5, v7, s7, v5
	v_sub_u32_e32 v9, 0x3f1, v8
	v_or_b32_e32 v7, 0x1000, v5
	v_med3_i32 v9, v9, 0, 13
	v_lshrrev_b32_e32 v11, v9, v7
	v_lshlrev_b32_e32 v9, v9, v11
	v_cmp_ne_u32_e32 vcc, v9, v7
	v_cndmask_b32_e64 v7, 0, 1, vcc
	v_add_u32_e32 v8, 0xfffffc10, v8
	v_or_b32_e32 v7, v11, v7
	v_lshl_or_b32 v9, v8, 12, v5
	v_cmp_gt_i32_e32 vcc, 1, v8
	v_cndmask_b32_e32 v7, v9, v7, vcc
	v_and_b32_e32 v9, 7, v7
	v_cmp_lt_i32_e32 vcc, 5, v9
	v_cmp_eq_u32_e64 s[0:1], 3, v9
	v_lshrrev_b32_e32 v9, 16, v6
	v_lshrrev_b32_e32 v7, 2, v7
	s_or_b64 vcc, s[0:1], vcc
	v_mul_f16_sdwa v11, v51, v9 dst_sel:DWORD dst_unused:UNUSED_PAD src0_sel:WORD_1 src1_sel:DWORD
	v_addc_co_u32_e32 v7, vcc, 0, v7, vcc
	v_fma_f16 v11, v51, v6, v11
	v_cmp_gt_i32_e32 vcc, 31, v8
	v_cvt_f32_f16_e32 v11, v11
	v_cndmask_b32_e32 v7, v0, v7, vcc
	v_cmp_ne_u32_e32 vcc, 0, v5
	v_cndmask_b32_e64 v5, 0, 1, vcc
	v_lshl_or_b32 v5, v5, 9, v0
	v_cmp_eq_u32_e32 vcc, s10, v8
	v_cndmask_b32_e32 v5, v7, v5, vcc
	v_cvt_f64_f32_e32 v[7:8], v11
	v_lshrrev_b32_e32 v10, 16, v10
	v_and_or_b32 v5, v10, s11, v5
	v_and_b32_e32 v3, 0xffff, v3
	v_mul_f64 v[7:8], v[7:8], s[4:5]
	v_lshl_or_b32 v3, v5, 16, v3
	v_mov_b32_e32 v5, s2
	v_add_co_u32_e32 v1, vcc, s3, v1
	v_addc_co_u32_e32 v2, vcc, v2, v5, vcc
	global_store_dword v[1:2], v3, off
	v_and_or_b32 v3, v8, s6, v7
	v_cmp_ne_u32_e32 vcc, 0, v3
	v_cndmask_b32_e64 v3, 0, 1, vcc
	v_lshrrev_b32_e32 v5, 8, v8
	v_bfe_u32 v7, v8, 20, 11
	v_and_or_b32 v3, v5, s7, v3
	v_sub_u32_e32 v10, 0x3f1, v7
	v_or_b32_e32 v5, 0x1000, v3
	v_med3_i32 v10, v10, 0, 13
	v_lshrrev_b32_e32 v11, v10, v5
	v_mul_f16_sdwa v6, v51, v6 dst_sel:DWORD dst_unused:UNUSED_PAD src0_sel:WORD_1 src1_sel:DWORD
	v_lshlrev_b32_e32 v10, v10, v11
	v_fma_f16 v6, v51, v9, -v6
	v_cmp_ne_u32_e32 vcc, v10, v5
	v_cvt_f32_f16_e32 v6, v6
	v_cndmask_b32_e64 v5, 0, 1, vcc
	v_add_u32_e32 v7, 0xfffffc10, v7
	v_or_b32_e32 v5, v11, v5
	v_lshl_or_b32 v10, v7, 12, v3
	v_cmp_gt_i32_e32 vcc, 1, v7
	v_cndmask_b32_e32 v5, v10, v5, vcc
	v_and_b32_e32 v10, 7, v5
	v_lshrrev_b32_e32 v9, 2, v5
	v_cvt_f64_f32_e32 v[5:6], v6
	v_cmp_lt_i32_e32 vcc, 5, v10
	v_cmp_eq_u32_e64 s[0:1], 3, v10
	s_or_b64 vcc, s[0:1], vcc
	v_mul_f64 v[5:6], v[5:6], s[4:5]
	v_addc_co_u32_e32 v9, vcc, 0, v9, vcc
	v_cmp_gt_i32_e32 vcc, 31, v7
	v_cndmask_b32_e32 v9, v0, v9, vcc
	v_cmp_ne_u32_e32 vcc, 0, v3
	v_cndmask_b32_e64 v3, 0, 1, vcc
	v_lshl_or_b32 v3, v3, 9, v0
	v_cmp_eq_u32_e32 vcc, s10, v7
	v_and_or_b32 v5, v6, s6, v5
	v_cndmask_b32_e32 v3, v9, v3, vcc
	v_lshrrev_b32_e32 v7, 16, v8
	v_cmp_ne_u32_e32 vcc, 0, v5
	v_and_or_b32 v3, v7, s11, v3
	v_cndmask_b32_e64 v5, 0, 1, vcc
	v_lshrrev_b32_e32 v7, 8, v6
	v_bfe_u32 v8, v6, 20, 11
	v_and_or_b32 v5, v7, s7, v5
	v_sub_u32_e32 v9, 0x3f1, v8
	v_or_b32_e32 v7, 0x1000, v5
	v_med3_i32 v9, v9, 0, 13
	v_lshrrev_b32_e32 v10, v9, v7
	v_lshlrev_b32_e32 v9, v9, v10
	v_cmp_ne_u32_e32 vcc, v9, v7
	v_cndmask_b32_e64 v7, 0, 1, vcc
	v_add_u32_e32 v8, 0xfffffc10, v8
	v_or_b32_e32 v7, v10, v7
	v_lshl_or_b32 v9, v8, 12, v5
	v_cmp_gt_i32_e32 vcc, 1, v8
	v_cndmask_b32_e32 v7, v9, v7, vcc
	v_and_b32_e32 v9, 7, v7
	v_cmp_lt_i32_e32 vcc, 5, v9
	v_cmp_eq_u32_e64 s[0:1], 3, v9
	v_lshrrev_b32_e32 v9, 16, v4
	v_lshrrev_b32_e32 v7, 2, v7
	s_or_b64 vcc, s[0:1], vcc
	v_mul_f16_sdwa v10, v50, v9 dst_sel:DWORD dst_unused:UNUSED_PAD src0_sel:WORD_1 src1_sel:DWORD
	v_addc_co_u32_e32 v7, vcc, 0, v7, vcc
	v_fma_f16 v10, v50, v4, v10
	v_cmp_gt_i32_e32 vcc, 31, v8
	v_cvt_f32_f16_e32 v10, v10
	v_cndmask_b32_e32 v7, v0, v7, vcc
	v_cmp_ne_u32_e32 vcc, 0, v5
	v_cndmask_b32_e64 v5, 0, 1, vcc
	v_lshl_or_b32 v5, v5, 9, v0
	v_cmp_eq_u32_e32 vcc, s10, v8
	v_cndmask_b32_e32 v5, v7, v5, vcc
	v_cvt_f64_f32_e32 v[7:8], v10
	v_lshrrev_b32_e32 v6, 16, v6
	v_and_or_b32 v10, v6, s11, v5
	v_and_b32_e32 v3, 0xffff, v3
	v_mul_f64 v[5:6], v[7:8], s[4:5]
	v_mov_b32_e32 v7, s9
	v_add_co_u32_e32 v1, vcc, s8, v1
	v_lshl_or_b32 v3, v10, 16, v3
	v_addc_co_u32_e32 v2, vcc, v2, v7, vcc
	global_store_dword v[1:2], v3, off
	v_and_or_b32 v3, v6, s6, v5
	v_cmp_ne_u32_e32 vcc, 0, v3
	v_cndmask_b32_e64 v3, 0, 1, vcc
	v_lshrrev_b32_e32 v5, 8, v6
	v_bfe_u32 v7, v6, 20, 11
	v_and_or_b32 v5, v5, s7, v3
	v_sub_u32_e32 v8, 0x3f1, v7
	v_or_b32_e32 v3, 0x1000, v5
	v_med3_i32 v8, v8, 0, 13
	v_lshrrev_b32_e32 v10, v8, v3
	v_lshlrev_b32_e32 v8, v8, v10
	v_mul_f16_sdwa v4, v50, v4 dst_sel:DWORD dst_unused:UNUSED_PAD src0_sel:WORD_1 src1_sel:DWORD
	v_cmp_ne_u32_e32 vcc, v8, v3
	v_fma_f16 v4, v50, v9, -v4
	v_cndmask_b32_e64 v3, 0, 1, vcc
	v_add_u32_e32 v7, 0xfffffc10, v7
	v_cvt_f32_f16_e32 v4, v4
	v_or_b32_e32 v3, v10, v3
	v_lshl_or_b32 v8, v7, 12, v5
	v_cmp_gt_i32_e32 vcc, 1, v7
	v_cndmask_b32_e32 v3, v8, v3, vcc
	v_and_b32_e32 v8, 7, v3
	v_cmp_lt_i32_e32 vcc, 5, v8
	v_cmp_eq_u32_e64 s[0:1], 3, v8
	v_lshrrev_b32_e32 v8, 2, v3
	v_cvt_f64_f32_e32 v[3:4], v4
	s_or_b64 vcc, s[0:1], vcc
	v_addc_co_u32_e32 v8, vcc, 0, v8, vcc
	v_mul_f64 v[3:4], v[3:4], s[4:5]
	v_cmp_gt_i32_e32 vcc, 31, v7
	v_cndmask_b32_e32 v8, v0, v8, vcc
	v_cmp_ne_u32_e32 vcc, 0, v5
	v_cndmask_b32_e64 v5, 0, 1, vcc
	v_lshl_or_b32 v5, v5, 9, v0
	v_cmp_eq_u32_e32 vcc, s10, v7
	v_cndmask_b32_e32 v5, v8, v5, vcc
	v_and_or_b32 v3, v4, s6, v3
	v_lshrrev_b32_e32 v6, 16, v6
	v_cmp_ne_u32_e32 vcc, 0, v3
	v_and_or_b32 v9, v6, s11, v5
	v_cndmask_b32_e64 v3, 0, 1, vcc
	v_lshrrev_b32_e32 v5, 8, v4
	v_bfe_u32 v6, v4, 20, 11
	v_and_or_b32 v3, v5, s7, v3
	v_sub_u32_e32 v7, 0x3f1, v6
	v_or_b32_e32 v5, 0x1000, v3
	v_med3_i32 v7, v7, 0, 13
	v_lshrrev_b32_e32 v8, v7, v5
	v_lshlrev_b32_e32 v7, v7, v8
	v_cmp_ne_u32_e32 vcc, v7, v5
	v_cndmask_b32_e64 v5, 0, 1, vcc
	v_add_u32_e32 v7, 0xfffffc10, v6
	v_or_b32_e32 v5, v8, v5
	v_lshl_or_b32 v6, v7, 12, v3
	v_cmp_gt_i32_e32 vcc, 1, v7
	v_cndmask_b32_e32 v5, v6, v5, vcc
	v_and_b32_e32 v6, 7, v5
	v_cmp_lt_i32_e32 vcc, 5, v6
	v_cmp_eq_u32_e64 s[0:1], 3, v6
	v_lshrrev_b32_e32 v5, 2, v5
	s_or_b64 vcc, s[0:1], vcc
	v_addc_co_u32_e32 v8, vcc, 0, v5, vcc
	v_add_u32_e32 v5, 0x200, v47
	ds_read2_b32 v[5:6], v5 offset0:124 offset1:187
	v_cmp_gt_i32_e32 vcc, 31, v7
	v_cndmask_b32_e32 v8, v0, v8, vcc
	v_cmp_ne_u32_e32 vcc, 0, v3
	v_cndmask_b32_e64 v3, 0, 1, vcc
	s_waitcnt lgkmcnt(0)
	v_lshrrev_b32_e32 v10, 16, v5
	v_mul_f16_sdwa v11, v49, v10 dst_sel:DWORD dst_unused:UNUSED_PAD src0_sel:WORD_1 src1_sel:DWORD
	v_fma_f16 v11, v49, v5, v11
	v_cvt_f32_f16_e32 v11, v11
	v_lshl_or_b32 v3, v3, 9, v0
	v_cmp_eq_u32_e32 vcc, s10, v7
	v_cndmask_b32_e32 v3, v8, v3, vcc
	v_cvt_f64_f32_e32 v[7:8], v11
	v_lshrrev_b32_e32 v4, 16, v4
	v_and_or_b32 v11, v4, s11, v3
	v_add_co_u32_e32 v1, vcc, s3, v1
	v_mul_f64 v[3:4], v[7:8], s[4:5]
	v_mov_b32_e32 v8, s2
	v_and_b32_e32 v9, 0xffff, v9
	v_addc_co_u32_e32 v2, vcc, v2, v8, vcc
	v_lshl_or_b32 v7, v11, 16, v9
	global_store_dword v[1:2], v7, off
	v_mul_f16_sdwa v5, v49, v5 dst_sel:DWORD dst_unused:UNUSED_PAD src0_sel:WORD_1 src1_sel:DWORD
	v_and_or_b32 v3, v4, s6, v3
	v_cmp_ne_u32_e32 vcc, 0, v3
	v_cndmask_b32_e64 v3, 0, 1, vcc
	v_lshrrev_b32_e32 v7, 8, v4
	v_bfe_u32 v8, v4, 20, 11
	v_and_or_b32 v3, v7, s7, v3
	v_sub_u32_e32 v9, 0x3f1, v8
	v_or_b32_e32 v7, 0x1000, v3
	v_med3_i32 v9, v9, 0, 13
	v_lshrrev_b32_e32 v11, v9, v7
	v_lshlrev_b32_e32 v9, v9, v11
	v_cmp_ne_u32_e32 vcc, v9, v7
	v_fma_f16 v5, v49, v10, -v5
	v_cndmask_b32_e64 v7, 0, 1, vcc
	v_add_u32_e32 v9, 0xfffffc10, v8
	v_cvt_f32_f16_e32 v5, v5
	v_or_b32_e32 v7, v11, v7
	v_lshl_or_b32 v8, v9, 12, v3
	v_cmp_gt_i32_e32 vcc, 1, v9
	v_cndmask_b32_e32 v7, v8, v7, vcc
	v_and_b32_e32 v8, 7, v7
	v_cmp_lt_i32_e32 vcc, 5, v8
	v_cmp_eq_u32_e64 s[0:1], 3, v8
	v_lshrrev_b32_e32 v10, 2, v7
	v_cvt_f64_f32_e32 v[7:8], v5
	s_or_b64 vcc, s[0:1], vcc
	v_addc_co_u32_e32 v5, vcc, 0, v10, vcc
	v_mul_f64 v[7:8], v[7:8], s[4:5]
	v_cmp_gt_i32_e32 vcc, 31, v9
	v_cndmask_b32_e32 v5, v0, v5, vcc
	v_cmp_ne_u32_e32 vcc, 0, v3
	v_cndmask_b32_e64 v3, 0, 1, vcc
	v_lshl_or_b32 v3, v3, 9, v0
	v_cmp_eq_u32_e32 vcc, s10, v9
	v_cndmask_b32_e32 v3, v5, v3, vcc
	v_lshrrev_b32_e32 v4, 16, v4
	v_and_or_b32 v5, v4, s11, v3
	v_and_or_b32 v3, v8, s6, v7
	v_cmp_ne_u32_e32 vcc, 0, v3
	v_cndmask_b32_e64 v3, 0, 1, vcc
	v_lshrrev_b32_e32 v4, 8, v8
	v_and_or_b32 v7, v4, s7, v3
	v_bfe_u32 v4, v8, 20, 11
	v_sub_u32_e32 v9, 0x3f1, v4
	v_or_b32_e32 v3, 0x1000, v7
	v_med3_i32 v9, v9, 0, 13
	v_lshrrev_b32_e32 v10, v9, v3
	v_lshlrev_b32_e32 v9, v9, v10
	v_cmp_ne_u32_e32 vcc, v9, v3
	v_cndmask_b32_e64 v3, 0, 1, vcc
	v_add_u32_e32 v9, 0xfffffc10, v4
	v_or_b32_e32 v3, v10, v3
	v_lshl_or_b32 v4, v9, 12, v7
	v_cmp_gt_i32_e32 vcc, 1, v9
	v_cndmask_b32_e32 v3, v4, v3, vcc
	v_and_b32_e32 v4, 7, v3
	v_cmp_lt_i32_e32 vcc, 5, v4
	v_cmp_eq_u32_e64 s[0:1], 3, v4
	v_lshrrev_b32_e32 v3, 2, v3
	s_or_b64 vcc, s[0:1], vcc
	v_addc_co_u32_e32 v10, vcc, 0, v3, vcc
	v_add_u32_e32 v3, 0x800, v47
	ds_read2_b32 v[3:4], v3 offset0:118 offset1:181
	v_cmp_gt_i32_e32 vcc, 31, v9
	v_cndmask_b32_e32 v10, v0, v10, vcc
	v_cmp_ne_u32_e32 vcc, 0, v7
	v_cndmask_b32_e64 v7, 0, 1, vcc
	s_waitcnt lgkmcnt(0)
	v_lshrrev_b32_e32 v11, 16, v3
	v_mul_f16_sdwa v12, v48, v11 dst_sel:DWORD dst_unused:UNUSED_PAD src0_sel:WORD_1 src1_sel:DWORD
	v_fma_f16 v12, v48, v3, v12
	v_cvt_f32_f16_e32 v12, v12
	v_lshl_or_b32 v7, v7, 9, v0
	v_cmp_eq_u32_e32 vcc, s10, v9
	v_cndmask_b32_e32 v7, v10, v7, vcc
	v_cvt_f64_f32_e32 v[9:10], v12
	v_lshrrev_b32_e32 v8, 16, v8
	v_and_or_b32 v12, v8, s11, v7
	v_and_b32_e32 v5, 0xffff, v5
	v_mul_f64 v[7:8], v[9:10], s[4:5]
	v_mov_b32_e32 v9, s9
	v_add_co_u32_e32 v1, vcc, s8, v1
	v_lshl_or_b32 v5, v12, 16, v5
	v_addc_co_u32_e32 v2, vcc, v2, v9, vcc
	global_store_dword v[1:2], v5, off
	v_and_or_b32 v5, v8, s6, v7
	v_cmp_ne_u32_e32 vcc, 0, v5
	v_cndmask_b32_e64 v5, 0, 1, vcc
	v_lshrrev_b32_e32 v7, 8, v8
	v_bfe_u32 v9, v8, 20, 11
	v_and_or_b32 v5, v7, s7, v5
	v_sub_u32_e32 v10, 0x3f1, v9
	v_or_b32_e32 v7, 0x1000, v5
	v_med3_i32 v10, v10, 0, 13
	v_lshrrev_b32_e32 v12, v10, v7
	v_lshlrev_b32_e32 v10, v10, v12
	v_cmp_ne_u32_e32 vcc, v10, v7
	v_mul_f16_sdwa v3, v48, v3 dst_sel:DWORD dst_unused:UNUSED_PAD src0_sel:WORD_1 src1_sel:DWORD
	v_cndmask_b32_e64 v7, 0, 1, vcc
	v_fma_f16 v3, v48, v11, -v3
	v_or_b32_e32 v7, v12, v7
	v_add_u32_e32 v12, 0xfffffc10, v9
	v_cvt_f32_f16_e32 v3, v3
	v_lshl_or_b32 v9, v12, 12, v5
	v_cmp_gt_i32_e32 vcc, 1, v12
	v_cndmask_b32_e32 v7, v9, v7, vcc
	v_and_b32_e32 v9, 7, v7
	v_cmp_lt_i32_e32 vcc, 5, v9
	v_cmp_eq_u32_e64 s[0:1], 3, v9
	v_cvt_f64_f32_e32 v[9:10], v3
	v_lshrrev_b32_e32 v7, 2, v7
	s_or_b64 vcc, s[0:1], vcc
	v_addc_co_u32_e32 v3, vcc, 0, v7, vcc
	v_mul_f64 v[9:10], v[9:10], s[4:5]
	v_cmp_gt_i32_e32 vcc, 31, v12
	v_cndmask_b32_e32 v3, v0, v3, vcc
	v_cmp_ne_u32_e32 vcc, 0, v5
	v_cndmask_b32_e64 v5, 0, 1, vcc
	v_lshl_or_b32 v5, v5, 9, v0
	v_cmp_eq_u32_e32 vcc, s10, v12
	v_cndmask_b32_e32 v3, v3, v5, vcc
	v_lshrrev_b32_e32 v5, 16, v8
	v_and_or_b32 v3, v5, s11, v3
	v_and_or_b32 v5, v10, s6, v9
	v_cmp_ne_u32_e32 vcc, 0, v5
	v_cndmask_b32_e64 v5, 0, 1, vcc
	v_lshrrev_b32_e32 v7, 8, v10
	v_bfe_u32 v8, v10, 20, 11
	v_and_or_b32 v5, v7, s7, v5
	v_sub_u32_e32 v9, 0x3f1, v8
	v_or_b32_e32 v7, 0x1000, v5
	v_med3_i32 v9, v9, 0, 13
	v_lshrrev_b32_e32 v11, v9, v7
	v_lshlrev_b32_e32 v9, v9, v11
	v_cmp_ne_u32_e32 vcc, v9, v7
	v_cndmask_b32_e64 v7, 0, 1, vcc
	v_add_u32_e32 v8, 0xfffffc10, v8
	v_or_b32_e32 v7, v11, v7
	v_lshl_or_b32 v9, v8, 12, v5
	v_cmp_gt_i32_e32 vcc, 1, v8
	v_cndmask_b32_e32 v7, v9, v7, vcc
	v_and_b32_e32 v9, 7, v7
	v_cmp_lt_i32_e32 vcc, 5, v9
	v_cmp_eq_u32_e64 s[0:1], 3, v9
	v_lshrrev_b32_e32 v9, 16, v6
	v_lshrrev_b32_e32 v7, 2, v7
	s_or_b64 vcc, s[0:1], vcc
	v_mul_f16_sdwa v11, v46, v9 dst_sel:DWORD dst_unused:UNUSED_PAD src0_sel:WORD_1 src1_sel:DWORD
	v_addc_co_u32_e32 v7, vcc, 0, v7, vcc
	v_fma_f16 v11, v46, v6, v11
	v_cmp_gt_i32_e32 vcc, 31, v8
	v_cvt_f32_f16_e32 v11, v11
	v_cndmask_b32_e32 v7, v0, v7, vcc
	v_cmp_ne_u32_e32 vcc, 0, v5
	v_cndmask_b32_e64 v5, 0, 1, vcc
	v_lshl_or_b32 v5, v5, 9, v0
	v_cmp_eq_u32_e32 vcc, s10, v8
	v_cndmask_b32_e32 v5, v7, v5, vcc
	v_cvt_f64_f32_e32 v[7:8], v11
	v_lshrrev_b32_e32 v10, 16, v10
	v_and_or_b32 v5, v10, s11, v5
	v_and_b32_e32 v3, 0xffff, v3
	v_mul_f64 v[7:8], v[7:8], s[4:5]
	v_lshl_or_b32 v3, v5, 16, v3
	v_mov_b32_e32 v5, s2
	v_add_co_u32_e32 v1, vcc, s3, v1
	v_addc_co_u32_e32 v2, vcc, v2, v5, vcc
	global_store_dword v[1:2], v3, off
	v_and_or_b32 v3, v8, s6, v7
	v_cmp_ne_u32_e32 vcc, 0, v3
	v_cndmask_b32_e64 v3, 0, 1, vcc
	v_lshrrev_b32_e32 v5, 8, v8
	v_bfe_u32 v7, v8, 20, 11
	v_and_or_b32 v3, v5, s7, v3
	v_sub_u32_e32 v10, 0x3f1, v7
	v_or_b32_e32 v5, 0x1000, v3
	v_med3_i32 v10, v10, 0, 13
	v_lshrrev_b32_e32 v11, v10, v5
	v_mul_f16_sdwa v6, v46, v6 dst_sel:DWORD dst_unused:UNUSED_PAD src0_sel:WORD_1 src1_sel:DWORD
	v_lshlrev_b32_e32 v10, v10, v11
	v_fma_f16 v6, v46, v9, -v6
	v_cmp_ne_u32_e32 vcc, v10, v5
	v_cvt_f32_f16_e32 v6, v6
	v_cndmask_b32_e64 v5, 0, 1, vcc
	v_add_u32_e32 v7, 0xfffffc10, v7
	v_or_b32_e32 v5, v11, v5
	v_lshl_or_b32 v10, v7, 12, v3
	v_cmp_gt_i32_e32 vcc, 1, v7
	v_cndmask_b32_e32 v5, v10, v5, vcc
	v_and_b32_e32 v10, 7, v5
	v_lshrrev_b32_e32 v9, 2, v5
	v_cvt_f64_f32_e32 v[5:6], v6
	v_cmp_lt_i32_e32 vcc, 5, v10
	v_cmp_eq_u32_e64 s[0:1], 3, v10
	s_or_b64 vcc, s[0:1], vcc
	v_mul_f64 v[5:6], v[5:6], s[4:5]
	v_addc_co_u32_e32 v9, vcc, 0, v9, vcc
	v_cmp_gt_i32_e32 vcc, 31, v7
	v_cndmask_b32_e32 v9, v0, v9, vcc
	v_cmp_ne_u32_e32 vcc, 0, v3
	v_cndmask_b32_e64 v3, 0, 1, vcc
	v_lshl_or_b32 v3, v3, 9, v0
	v_cmp_eq_u32_e32 vcc, s10, v7
	v_and_or_b32 v5, v6, s6, v5
	v_cndmask_b32_e32 v3, v9, v3, vcc
	v_lshrrev_b32_e32 v7, 16, v8
	v_cmp_ne_u32_e32 vcc, 0, v5
	v_and_or_b32 v3, v7, s11, v3
	v_cndmask_b32_e64 v5, 0, 1, vcc
	v_lshrrev_b32_e32 v7, 8, v6
	v_bfe_u32 v8, v6, 20, 11
	v_and_or_b32 v5, v7, s7, v5
	v_sub_u32_e32 v9, 0x3f1, v8
	v_or_b32_e32 v7, 0x1000, v5
	v_med3_i32 v9, v9, 0, 13
	v_lshrrev_b32_e32 v10, v9, v7
	v_lshlrev_b32_e32 v9, v9, v10
	v_cmp_ne_u32_e32 vcc, v9, v7
	v_cndmask_b32_e64 v7, 0, 1, vcc
	v_add_u32_e32 v8, 0xfffffc10, v8
	v_or_b32_e32 v7, v10, v7
	v_lshl_or_b32 v9, v8, 12, v5
	v_cmp_gt_i32_e32 vcc, 1, v8
	v_cndmask_b32_e32 v7, v9, v7, vcc
	v_and_b32_e32 v9, 7, v7
	v_cmp_lt_i32_e32 vcc, 5, v9
	v_cmp_eq_u32_e64 s[0:1], 3, v9
	v_lshrrev_b32_e32 v9, 16, v4
	v_lshrrev_b32_e32 v7, 2, v7
	s_or_b64 vcc, s[0:1], vcc
	v_mul_f16_sdwa v10, v45, v9 dst_sel:DWORD dst_unused:UNUSED_PAD src0_sel:WORD_1 src1_sel:DWORD
	v_addc_co_u32_e32 v7, vcc, 0, v7, vcc
	v_fma_f16 v10, v45, v4, v10
	v_cmp_gt_i32_e32 vcc, 31, v8
	v_cvt_f32_f16_e32 v10, v10
	v_cndmask_b32_e32 v7, v0, v7, vcc
	v_cmp_ne_u32_e32 vcc, 0, v5
	v_cndmask_b32_e64 v5, 0, 1, vcc
	v_lshl_or_b32 v5, v5, 9, v0
	v_cmp_eq_u32_e32 vcc, s10, v8
	v_cndmask_b32_e32 v5, v7, v5, vcc
	v_cvt_f64_f32_e32 v[7:8], v10
	v_lshrrev_b32_e32 v6, 16, v6
	v_and_or_b32 v10, v6, s11, v5
	v_and_b32_e32 v3, 0xffff, v3
	v_mul_f64 v[5:6], v[7:8], s[4:5]
	v_mov_b32_e32 v7, s9
	v_add_co_u32_e32 v1, vcc, s8, v1
	v_lshl_or_b32 v3, v10, 16, v3
	v_addc_co_u32_e32 v2, vcc, v2, v7, vcc
	global_store_dword v[1:2], v3, off
	v_and_or_b32 v3, v6, s6, v5
	v_cmp_ne_u32_e32 vcc, 0, v3
	v_cndmask_b32_e64 v3, 0, 1, vcc
	v_lshrrev_b32_e32 v5, 8, v6
	v_bfe_u32 v7, v6, 20, 11
	v_and_or_b32 v5, v5, s7, v3
	v_sub_u32_e32 v8, 0x3f1, v7
	v_or_b32_e32 v3, 0x1000, v5
	v_med3_i32 v8, v8, 0, 13
	v_lshrrev_b32_e32 v10, v8, v3
	v_lshlrev_b32_e32 v8, v8, v10
	v_mul_f16_sdwa v4, v45, v4 dst_sel:DWORD dst_unused:UNUSED_PAD src0_sel:WORD_1 src1_sel:DWORD
	v_cmp_ne_u32_e32 vcc, v8, v3
	v_fma_f16 v4, v45, v9, -v4
	v_cndmask_b32_e64 v3, 0, 1, vcc
	v_add_u32_e32 v7, 0xfffffc10, v7
	v_cvt_f32_f16_e32 v4, v4
	v_or_b32_e32 v3, v10, v3
	v_lshl_or_b32 v8, v7, 12, v5
	v_cmp_gt_i32_e32 vcc, 1, v7
	v_cndmask_b32_e32 v3, v8, v3, vcc
	v_and_b32_e32 v8, 7, v3
	v_cmp_lt_i32_e32 vcc, 5, v8
	v_cmp_eq_u32_e64 s[0:1], 3, v8
	v_lshrrev_b32_e32 v8, 2, v3
	v_cvt_f64_f32_e32 v[3:4], v4
	s_or_b64 vcc, s[0:1], vcc
	v_addc_co_u32_e32 v8, vcc, 0, v8, vcc
	v_mul_f64 v[3:4], v[3:4], s[4:5]
	v_cmp_gt_i32_e32 vcc, 31, v7
	v_cndmask_b32_e32 v8, v0, v8, vcc
	v_cmp_ne_u32_e32 vcc, 0, v5
	v_cndmask_b32_e64 v5, 0, 1, vcc
	v_lshl_or_b32 v5, v5, 9, v0
	v_cmp_eq_u32_e32 vcc, s10, v7
	v_cndmask_b32_e32 v5, v8, v5, vcc
	v_and_or_b32 v3, v4, s6, v3
	v_lshrrev_b32_e32 v6, 16, v6
	v_cmp_ne_u32_e32 vcc, 0, v3
	v_and_or_b32 v5, v6, s11, v5
	v_cndmask_b32_e64 v3, 0, 1, vcc
	v_lshrrev_b32_e32 v6, 8, v4
	v_bfe_u32 v7, v4, 20, 11
	v_and_or_b32 v3, v6, s7, v3
	v_sub_u32_e32 v8, 0x3f1, v7
	v_or_b32_e32 v6, 0x1000, v3
	v_med3_i32 v8, v8, 0, 13
	v_lshrrev_b32_e32 v9, v8, v6
	v_lshlrev_b32_e32 v8, v8, v9
	v_cmp_ne_u32_e32 vcc, v8, v6
	v_cndmask_b32_e64 v6, 0, 1, vcc
	v_add_u32_e32 v7, 0xfffffc10, v7
	v_or_b32_e32 v6, v9, v6
	v_lshl_or_b32 v8, v7, 12, v3
	v_cmp_gt_i32_e32 vcc, 1, v7
	v_cndmask_b32_e32 v6, v8, v6, vcc
	v_and_b32_e32 v8, 7, v6
	v_cmp_lt_i32_e32 vcc, 5, v8
	v_cmp_eq_u32_e64 s[0:1], 3, v8
	v_lshrrev_b32_e32 v6, 2, v6
	s_or_b64 vcc, s[0:1], vcc
	v_addc_co_u32_e32 v6, vcc, 0, v6, vcc
	v_cmp_gt_i32_e32 vcc, 31, v7
	v_cndmask_b32_e32 v6, v0, v6, vcc
	v_cmp_ne_u32_e32 vcc, 0, v3
	v_cndmask_b32_e64 v3, 0, 1, vcc
	v_lshl_or_b32 v0, v3, 9, v0
	v_cmp_eq_u32_e32 vcc, s10, v7
	v_cndmask_b32_e32 v0, v6, v0, vcc
	v_lshrrev_b32_e32 v3, 16, v4
	v_and_or_b32 v0, v3, s11, v0
	v_and_b32_e32 v3, 0xffff, v5
	v_lshl_or_b32 v3, v0, 16, v3
	v_mov_b32_e32 v4, s2
	v_add_co_u32_e32 v0, vcc, s3, v1
	v_addc_co_u32_e32 v1, vcc, v2, v4, vcc
	global_store_dword v[0:1], v3, off
.LBB0_10:
	s_endpgm
	.section	.rodata,"a",@progbits
	.p2align	6, 0x0
	.amdhsa_kernel bluestein_single_back_len756_dim1_half_op_CI_CI
		.amdhsa_group_segment_fixed_size 3024
		.amdhsa_private_segment_fixed_size 0
		.amdhsa_kernarg_size 104
		.amdhsa_user_sgpr_count 6
		.amdhsa_user_sgpr_private_segment_buffer 1
		.amdhsa_user_sgpr_dispatch_ptr 0
		.amdhsa_user_sgpr_queue_ptr 0
		.amdhsa_user_sgpr_kernarg_segment_ptr 1
		.amdhsa_user_sgpr_dispatch_id 0
		.amdhsa_user_sgpr_flat_scratch_init 0
		.amdhsa_user_sgpr_private_segment_size 0
		.amdhsa_uses_dynamic_stack 0
		.amdhsa_system_sgpr_private_segment_wavefront_offset 0
		.amdhsa_system_sgpr_workgroup_id_x 1
		.amdhsa_system_sgpr_workgroup_id_y 0
		.amdhsa_system_sgpr_workgroup_id_z 0
		.amdhsa_system_sgpr_workgroup_info 0
		.amdhsa_system_vgpr_workitem_id 0
		.amdhsa_next_free_vgpr 127
		.amdhsa_next_free_sgpr 20
		.amdhsa_reserve_vcc 1
		.amdhsa_reserve_flat_scratch 0
		.amdhsa_float_round_mode_32 0
		.amdhsa_float_round_mode_16_64 0
		.amdhsa_float_denorm_mode_32 3
		.amdhsa_float_denorm_mode_16_64 3
		.amdhsa_dx10_clamp 1
		.amdhsa_ieee_mode 1
		.amdhsa_fp16_overflow 0
		.amdhsa_exception_fp_ieee_invalid_op 0
		.amdhsa_exception_fp_denorm_src 0
		.amdhsa_exception_fp_ieee_div_zero 0
		.amdhsa_exception_fp_ieee_overflow 0
		.amdhsa_exception_fp_ieee_underflow 0
		.amdhsa_exception_fp_ieee_inexact 0
		.amdhsa_exception_int_div_zero 0
	.end_amdhsa_kernel
	.text
.Lfunc_end0:
	.size	bluestein_single_back_len756_dim1_half_op_CI_CI, .Lfunc_end0-bluestein_single_back_len756_dim1_half_op_CI_CI
                                        ; -- End function
	.section	.AMDGPU.csdata,"",@progbits
; Kernel info:
; codeLenInByte = 19372
; NumSgprs: 24
; NumVgprs: 127
; ScratchSize: 0
; MemoryBound: 0
; FloatMode: 240
; IeeeMode: 1
; LDSByteSize: 3024 bytes/workgroup (compile time only)
; SGPRBlocks: 2
; VGPRBlocks: 31
; NumSGPRsForWavesPerEU: 24
; NumVGPRsForWavesPerEU: 127
; Occupancy: 2
; WaveLimiterHint : 1
; COMPUTE_PGM_RSRC2:SCRATCH_EN: 0
; COMPUTE_PGM_RSRC2:USER_SGPR: 6
; COMPUTE_PGM_RSRC2:TRAP_HANDLER: 0
; COMPUTE_PGM_RSRC2:TGID_X_EN: 1
; COMPUTE_PGM_RSRC2:TGID_Y_EN: 0
; COMPUTE_PGM_RSRC2:TGID_Z_EN: 0
; COMPUTE_PGM_RSRC2:TIDIG_COMP_CNT: 0
	.type	__hip_cuid_c6aea1080202dfb6,@object ; @__hip_cuid_c6aea1080202dfb6
	.section	.bss,"aw",@nobits
	.globl	__hip_cuid_c6aea1080202dfb6
__hip_cuid_c6aea1080202dfb6:
	.byte	0                               ; 0x0
	.size	__hip_cuid_c6aea1080202dfb6, 1

	.ident	"AMD clang version 19.0.0git (https://github.com/RadeonOpenCompute/llvm-project roc-6.4.0 25133 c7fe45cf4b819c5991fe208aaa96edf142730f1d)"
	.section	".note.GNU-stack","",@progbits
	.addrsig
	.addrsig_sym __hip_cuid_c6aea1080202dfb6
	.amdgpu_metadata
---
amdhsa.kernels:
  - .args:
      - .actual_access:  read_only
        .address_space:  global
        .offset:         0
        .size:           8
        .value_kind:     global_buffer
      - .actual_access:  read_only
        .address_space:  global
        .offset:         8
        .size:           8
        .value_kind:     global_buffer
      - .actual_access:  read_only
        .address_space:  global
        .offset:         16
        .size:           8
        .value_kind:     global_buffer
      - .actual_access:  read_only
        .address_space:  global
        .offset:         24
        .size:           8
        .value_kind:     global_buffer
      - .actual_access:  read_only
        .address_space:  global
        .offset:         32
        .size:           8
        .value_kind:     global_buffer
      - .offset:         40
        .size:           8
        .value_kind:     by_value
      - .address_space:  global
        .offset:         48
        .size:           8
        .value_kind:     global_buffer
      - .address_space:  global
        .offset:         56
        .size:           8
        .value_kind:     global_buffer
      - .address_space:  global
        .offset:         64
        .size:           8
        .value_kind:     global_buffer
      - .address_space:  global
        .offset:         72
        .size:           8
        .value_kind:     global_buffer
      - .offset:         80
        .size:           4
        .value_kind:     by_value
      - .address_space:  global
        .offset:         88
        .size:           8
        .value_kind:     global_buffer
      - .address_space:  global
        .offset:         96
        .size:           8
        .value_kind:     global_buffer
    .group_segment_fixed_size: 3024
    .kernarg_segment_align: 8
    .kernarg_segment_size: 104
    .language:       OpenCL C
    .language_version:
      - 2
      - 0
    .max_flat_workgroup_size: 63
    .name:           bluestein_single_back_len756_dim1_half_op_CI_CI
    .private_segment_fixed_size: 0
    .sgpr_count:     24
    .sgpr_spill_count: 0
    .symbol:         bluestein_single_back_len756_dim1_half_op_CI_CI.kd
    .uniform_work_group_size: 1
    .uses_dynamic_stack: false
    .vgpr_count:     127
    .vgpr_spill_count: 0
    .wavefront_size: 64
amdhsa.target:   amdgcn-amd-amdhsa--gfx906
amdhsa.version:
  - 1
  - 2
...

	.end_amdgpu_metadata
